;; amdgpu-corpus repo=ROCm/rocFFT kind=compiled arch=gfx950 opt=O3
	.text
	.amdgcn_target "amdgcn-amd-amdhsa--gfx950"
	.amdhsa_code_object_version 6
	.protected	fft_rtc_fwd_len2430_factors_10_3_3_3_3_3_wgs_81_tpt_81_halfLds_half_op_CI_CI_unitstride_sbrr_dirReg ; -- Begin function fft_rtc_fwd_len2430_factors_10_3_3_3_3_3_wgs_81_tpt_81_halfLds_half_op_CI_CI_unitstride_sbrr_dirReg
	.globl	fft_rtc_fwd_len2430_factors_10_3_3_3_3_3_wgs_81_tpt_81_halfLds_half_op_CI_CI_unitstride_sbrr_dirReg
	.p2align	8
	.type	fft_rtc_fwd_len2430_factors_10_3_3_3_3_3_wgs_81_tpt_81_halfLds_half_op_CI_CI_unitstride_sbrr_dirReg,@function
fft_rtc_fwd_len2430_factors_10_3_3_3_3_3_wgs_81_tpt_81_halfLds_half_op_CI_CI_unitstride_sbrr_dirReg: ; @fft_rtc_fwd_len2430_factors_10_3_3_3_3_3_wgs_81_tpt_81_halfLds_half_op_CI_CI_unitstride_sbrr_dirReg
; %bb.0:
	s_load_dwordx4 s[4:7], s[0:1], 0x58
	s_load_dwordx4 s[8:11], s[0:1], 0x0
	;; [unrolled: 1-line block ×3, first 2 shown]
	v_mul_u32_u24_e32 v1, 0x32a, v0
	v_add_u32_sdwa v10, s2, v1 dst_sel:DWORD dst_unused:UNUSED_PAD src0_sel:DWORD src1_sel:WORD_1
	v_mov_b32_e32 v8, 0
	s_waitcnt lgkmcnt(0)
	v_cmp_lt_u64_e64 s[2:3], s[10:11], 2
	v_mov_b32_e32 v11, v8
	s_and_b64 vcc, exec, s[2:3]
	v_mov_b64_e32 v[6:7], 0
	s_cbranch_vccnz .LBB0_8
; %bb.1:
	s_load_dwordx2 s[2:3], s[0:1], 0x10
	s_add_u32 s16, s14, 8
	s_addc_u32 s17, s15, 0
	s_add_u32 s18, s12, 8
	s_addc_u32 s19, s13, 0
	s_waitcnt lgkmcnt(0)
	s_add_u32 s20, s2, 8
	v_mov_b64_e32 v[6:7], 0
	s_addc_u32 s21, s3, 0
	s_mov_b64 s[22:23], 1
	v_mov_b64_e32 v[2:3], v[6:7]
.LBB0_2:                                ; =>This Inner Loop Header: Depth=1
	s_load_dwordx2 s[24:25], s[20:21], 0x0
                                        ; implicit-def: $vgpr4_vgpr5
	s_waitcnt lgkmcnt(0)
	v_or_b32_e32 v9, s25, v11
	v_cmp_ne_u64_e32 vcc, 0, v[8:9]
	s_and_saveexec_b64 s[2:3], vcc
	s_xor_b64 s[26:27], exec, s[2:3]
	s_cbranch_execz .LBB0_4
; %bb.3:                                ;   in Loop: Header=BB0_2 Depth=1
	v_cvt_f32_u32_e32 v1, s24
	v_cvt_f32_u32_e32 v4, s25
	s_sub_u32 s2, 0, s24
	s_subb_u32 s3, 0, s25
	v_fmac_f32_e32 v1, 0x4f800000, v4
	v_rcp_f32_e32 v1, v1
	s_nop 0
	v_mul_f32_e32 v1, 0x5f7ffffc, v1
	v_mul_f32_e32 v4, 0x2f800000, v1
	v_trunc_f32_e32 v4, v4
	v_fmac_f32_e32 v1, 0xcf800000, v4
	v_cvt_u32_f32_e32 v9, v4
	v_cvt_u32_f32_e32 v1, v1
	v_mul_lo_u32 v4, s2, v9
	v_mul_hi_u32 v12, s2, v1
	v_mul_lo_u32 v5, s3, v1
	v_add_u32_e32 v12, v12, v4
	v_mul_lo_u32 v14, s2, v1
	v_add_u32_e32 v15, v12, v5
	v_mul_hi_u32 v4, v1, v14
	v_mul_hi_u32 v13, v1, v15
	v_mul_lo_u32 v12, v1, v15
	v_mov_b32_e32 v5, v8
	v_lshl_add_u64 v[4:5], v[4:5], 0, v[12:13]
	v_mul_hi_u32 v13, v9, v14
	v_mul_lo_u32 v14, v9, v14
	v_add_co_u32_e32 v4, vcc, v4, v14
	v_mul_hi_u32 v12, v9, v15
	s_nop 0
	v_addc_co_u32_e32 v4, vcc, v5, v13, vcc
	v_mov_b32_e32 v5, v8
	s_nop 0
	v_addc_co_u32_e32 v13, vcc, 0, v12, vcc
	v_mul_lo_u32 v12, v9, v15
	v_lshl_add_u64 v[4:5], v[4:5], 0, v[12:13]
	v_add_co_u32_e32 v1, vcc, v1, v4
	v_mul_lo_u32 v12, s2, v1
	s_nop 0
	v_addc_co_u32_e32 v9, vcc, v9, v5, vcc
	v_mul_lo_u32 v4, s2, v9
	v_mul_hi_u32 v5, s2, v1
	v_add_u32_e32 v4, v5, v4
	v_mul_lo_u32 v5, s3, v1
	v_add_u32_e32 v14, v4, v5
	v_mul_hi_u32 v16, v9, v12
	v_mul_lo_u32 v17, v9, v12
	v_mul_hi_u32 v5, v1, v14
	v_mul_lo_u32 v4, v1, v14
	v_mul_hi_u32 v12, v1, v12
	v_mov_b32_e32 v13, v8
	v_lshl_add_u64 v[4:5], v[12:13], 0, v[4:5]
	v_add_co_u32_e32 v4, vcc, v4, v17
	v_mul_hi_u32 v15, v9, v14
	s_nop 0
	v_addc_co_u32_e32 v4, vcc, v5, v16, vcc
	v_mul_lo_u32 v12, v9, v14
	s_nop 0
	v_addc_co_u32_e32 v13, vcc, 0, v15, vcc
	v_mov_b32_e32 v5, v8
	v_lshl_add_u64 v[4:5], v[4:5], 0, v[12:13]
	v_add_co_u32_e32 v1, vcc, v1, v4
	v_mul_hi_u32 v12, v10, v1
	s_nop 0
	v_addc_co_u32_e32 v9, vcc, v9, v5, vcc
	v_mad_u64_u32 v[4:5], s[2:3], v10, v9, 0
	v_mov_b32_e32 v13, v8
	v_lshl_add_u64 v[4:5], v[12:13], 0, v[4:5]
	v_mad_u64_u32 v[14:15], s[2:3], v11, v1, 0
	v_add_co_u32_e32 v1, vcc, v4, v14
	v_mad_u64_u32 v[12:13], s[2:3], v11, v9, 0
	s_nop 0
	v_addc_co_u32_e32 v4, vcc, v5, v15, vcc
	v_mov_b32_e32 v5, v8
	s_nop 0
	v_addc_co_u32_e32 v13, vcc, 0, v13, vcc
	v_lshl_add_u64 v[4:5], v[4:5], 0, v[12:13]
	v_mul_lo_u32 v1, s25, v4
	v_mul_lo_u32 v9, s24, v5
	v_mad_u64_u32 v[12:13], s[2:3], s24, v4, 0
	v_add3_u32 v1, v13, v9, v1
	v_sub_u32_e32 v9, v11, v1
	v_mov_b32_e32 v13, s25
	v_sub_co_u32_e32 v16, vcc, v10, v12
	v_lshl_add_u64 v[14:15], v[4:5], 0, 1
	s_nop 0
	v_subb_co_u32_e64 v9, s[2:3], v9, v13, vcc
	v_subrev_co_u32_e64 v12, s[2:3], s24, v16
	v_subb_co_u32_e32 v1, vcc, v11, v1, vcc
	s_nop 0
	v_subbrev_co_u32_e64 v9, s[2:3], 0, v9, s[2:3]
	v_cmp_le_u32_e64 s[2:3], s25, v9
	v_cmp_le_u32_e32 vcc, s25, v1
	s_nop 0
	v_cndmask_b32_e64 v13, 0, -1, s[2:3]
	v_cmp_le_u32_e64 s[2:3], s24, v12
	s_nop 1
	v_cndmask_b32_e64 v12, 0, -1, s[2:3]
	v_cmp_eq_u32_e64 s[2:3], s25, v9
	s_nop 1
	v_cndmask_b32_e64 v9, v13, v12, s[2:3]
	v_lshl_add_u64 v[12:13], v[4:5], 0, 2
	v_cmp_ne_u32_e64 s[2:3], 0, v9
	s_nop 1
	v_cndmask_b32_e64 v9, v15, v13, s[2:3]
	v_cndmask_b32_e64 v13, 0, -1, vcc
	v_cmp_le_u32_e32 vcc, s24, v16
	s_nop 1
	v_cndmask_b32_e64 v15, 0, -1, vcc
	v_cmp_eq_u32_e32 vcc, s25, v1
	s_nop 1
	v_cndmask_b32_e32 v1, v13, v15, vcc
	v_cmp_ne_u32_e32 vcc, 0, v1
	v_cndmask_b32_e64 v1, v14, v12, s[2:3]
	s_nop 0
	v_cndmask_b32_e32 v5, v5, v9, vcc
	v_cndmask_b32_e32 v4, v4, v1, vcc
.LBB0_4:                                ;   in Loop: Header=BB0_2 Depth=1
	s_andn2_saveexec_b64 s[2:3], s[26:27]
	s_cbranch_execz .LBB0_6
; %bb.5:                                ;   in Loop: Header=BB0_2 Depth=1
	v_cvt_f32_u32_e32 v1, s24
	s_sub_i32 s26, 0, s24
	v_rcp_iflag_f32_e32 v1, v1
	s_nop 0
	v_mul_f32_e32 v1, 0x4f7ffffe, v1
	v_cvt_u32_f32_e32 v1, v1
	v_mul_lo_u32 v4, s26, v1
	v_mul_hi_u32 v4, v1, v4
	v_add_u32_e32 v1, v1, v4
	v_mul_hi_u32 v1, v10, v1
	v_mul_lo_u32 v4, v1, s24
	v_sub_u32_e32 v4, v10, v4
	v_add_u32_e32 v5, 1, v1
	v_subrev_u32_e32 v9, s24, v4
	v_cmp_le_u32_e32 vcc, s24, v4
	s_nop 1
	v_cndmask_b32_e32 v4, v4, v9, vcc
	v_cndmask_b32_e32 v1, v1, v5, vcc
	v_add_u32_e32 v5, 1, v1
	v_cmp_le_u32_e32 vcc, s24, v4
	s_nop 1
	v_cndmask_b32_e32 v4, v1, v5, vcc
	v_mov_b32_e32 v5, v8
.LBB0_6:                                ;   in Loop: Header=BB0_2 Depth=1
	s_or_b64 exec, exec, s[2:3]
	v_mad_u64_u32 v[12:13], s[2:3], v4, s24, 0
	s_load_dwordx2 s[2:3], s[18:19], 0x0
	v_mul_lo_u32 v1, v5, s24
	v_mul_lo_u32 v9, v4, s25
	s_load_dwordx2 s[24:25], s[16:17], 0x0
	s_add_u32 s22, s22, 1
	v_add3_u32 v1, v13, v9, v1
	v_sub_co_u32_e32 v9, vcc, v10, v12
	s_addc_u32 s23, s23, 0
	s_nop 0
	v_subb_co_u32_e32 v1, vcc, v11, v1, vcc
	s_add_u32 s16, s16, 8
	s_waitcnt lgkmcnt(0)
	v_mul_lo_u32 v10, s2, v1
	v_mul_lo_u32 v11, s3, v9
	v_mad_u64_u32 v[6:7], s[2:3], s2, v9, v[6:7]
	s_addc_u32 s17, s17, 0
	v_add3_u32 v7, v11, v7, v10
	v_mul_lo_u32 v1, s24, v1
	v_mul_lo_u32 v10, s25, v9
	v_mad_u64_u32 v[2:3], s[2:3], s24, v9, v[2:3]
	s_add_u32 s18, s18, 8
	v_add3_u32 v3, v10, v3, v1
	s_addc_u32 s19, s19, 0
	v_mov_b64_e32 v[10:11], s[10:11]
	s_add_u32 s20, s20, 8
	v_cmp_ge_u64_e32 vcc, s[22:23], v[10:11]
	s_addc_u32 s21, s21, 0
	s_cbranch_vccnz .LBB0_9
; %bb.7:                                ;   in Loop: Header=BB0_2 Depth=1
	v_mov_b64_e32 v[10:11], v[4:5]
	s_branch .LBB0_2
.LBB0_8:
	v_mov_b64_e32 v[2:3], v[6:7]
	v_mov_b64_e32 v[4:5], v[10:11]
.LBB0_9:
	s_load_dwordx2 s[0:1], s[0:1], 0x28
	s_lshl_b64 s[16:17], s[10:11], 3
	s_add_u32 s2, s14, s16
	s_addc_u32 s3, s15, s17
                                        ; implicit-def: $vgpr26
	s_waitcnt lgkmcnt(0)
	v_cmp_gt_u64_e32 vcc, s[0:1], v[4:5]
	v_cmp_le_u64_e64 s[0:1], s[0:1], v[4:5]
	s_and_saveexec_b64 s[10:11], s[0:1]
	s_xor_b64 s[0:1], exec, s[10:11]
; %bb.10:
	s_mov_b32 s10, 0x3291620
	v_mul_hi_u32 v1, v0, s10
	v_mul_u32_u24_e32 v1, 0x51, v1
	v_sub_u32_e32 v26, v0, v1
                                        ; implicit-def: $vgpr0
                                        ; implicit-def: $vgpr6_vgpr7
; %bb.11:
	s_or_saveexec_b64 s[10:11], s[0:1]
                                        ; implicit-def: $vgpr10
                                        ; implicit-def: $vgpr12
                                        ; implicit-def: $vgpr11
                                        ; implicit-def: $vgpr8
                                        ; implicit-def: $vgpr14
                                        ; implicit-def: $vgpr1
                                        ; implicit-def: $vgpr15
                                        ; implicit-def: $vgpr9
                                        ; implicit-def: $vgpr13
                                        ; implicit-def: $vgpr40
                                        ; implicit-def: $vgpr33
                                        ; implicit-def: $vgpr29
                                        ; implicit-def: $vgpr34
                                        ; implicit-def: $vgpr28
                                        ; implicit-def: $vgpr38
                                        ; implicit-def: $vgpr27
                                        ; implicit-def: $vgpr35
                                        ; implicit-def: $vgpr25
                                        ; implicit-def: $vgpr39
                                        ; implicit-def: $vgpr48
                                        ; implicit-def: $vgpr44
                                        ; implicit-def: $vgpr22
                                        ; implicit-def: $vgpr45
                                        ; implicit-def: $vgpr21
                                        ; implicit-def: $vgpr46
                                        ; implicit-def: $vgpr20
                                        ; implicit-def: $vgpr47
                                        ; implicit-def: $vgpr23
                                        ; implicit-def: $vgpr49
                                        ; implicit-def: $vgpr51
                                        ; implicit-def: $vgpr37
                                        ; implicit-def: $vgpr42
                                        ; implicit-def: $vgpr24
                                        ; implicit-def: $vgpr41
                                        ; implicit-def: $vgpr52
                                        ; implicit-def: $vgpr32
                                        ; implicit-def: $vgpr36
                                        ; implicit-def: $vgpr30
                                        ; implicit-def: $vgpr31
                                        ; implicit-def: $vgpr50
                                        ; implicit-def: $vgpr16
                                        ; implicit-def: $vgpr18
                                        ; implicit-def: $vgpr19
                                        ; implicit-def: $vgpr17
                                        ; implicit-def: $vgpr43
	s_xor_b64 exec, exec, s[10:11]
	s_cbranch_execz .LBB0_13
; %bb.12:
	s_add_u32 s0, s12, s16
	s_addc_u32 s1, s13, s17
	s_load_dwordx2 s[0:1], s[0:1], 0x0
	s_mov_b32 s12, 0x3291620
	s_waitcnt lgkmcnt(0)
	v_mul_lo_u32 v1, s1, v4
	v_mul_lo_u32 v10, s0, v5
	v_mad_u64_u32 v[8:9], s[0:1], s0, v4, 0
	v_add3_u32 v9, v9, v10, v1
	v_mul_hi_u32 v1, v0, s12
	v_mul_u32_u24_e32 v1, 0x51, v1
	v_sub_u32_e32 v26, v0, v1
	v_lshl_add_u64 v[0:1], v[8:9], 2, s[4:5]
	v_lshl_add_u64 v[0:1], v[6:7], 2, v[0:1]
	v_lshlrev_b32_e32 v6, 2, v26
	v_mov_b32_e32 v7, 0
	v_lshl_add_u64 v[6:7], v[0:1], 0, v[6:7]
	s_movk_i32 s0, 0x1000
	v_add_co_u32_e64 v10, s[0:1], s0, v6
	s_nop 1
	v_addc_co_u32_e64 v11, s[0:1], 0, v7, s[0:1]
	s_movk_i32 s0, 0x2000
	s_nop 0
	v_add_co_u32_e64 v14, s[0:1], s0, v6
	s_nop 1
	v_addc_co_u32_e64 v15, s[0:1], 0, v7, s[0:1]
	global_load_dword v51, v[6:7], off
	global_load_dword v48, v[6:7], off offset:324
	global_load_dword v25, v[6:7], off offset:2268
	;; [unrolled: 1-line block ×29, first 2 shown]
	s_waitcnt vmcnt(29)
	v_lshrrev_b32_e32 v49, 16, v51
	s_waitcnt vmcnt(28)
	v_lshrrev_b32_e32 v39, 16, v48
	;; [unrolled: 2-line block ×15, first 2 shown]
.LBB0_13:
	s_or_b64 exec, exec, s[10:11]
	v_sub_f16_e32 v0, v23, v20
	v_sub_f16_e32 v6, v22, v21
	v_add_f16_e32 v54, v6, v0
	v_add_f16_e32 v0, v22, v23
	v_sub_f16_e32 v53, v46, v45
	s_mov_b32 s5, 0xbb9c
	v_fma_f16 v0, v0, -0.5, v51
	v_sub_f16_e32 v7, v47, v44
	s_movk_i32 s1, 0x38b4
	v_fma_f16 v6, v53, s5, v0
	v_sub_f16_e32 v55, v20, v23
	v_sub_f16_e32 v56, v21, v22
	s_movk_i32 s0, 0x3b9c
	s_movk_i32 s10, 0x34f2
	v_fma_f16 v6, v7, s1, v6
	v_add_f16_e32 v55, v56, v55
	s_mov_b32 s4, 0xb8b4
	v_fma_f16 v56, v55, s10, v6
	v_fma_f16 v0, v53, s0, v0
	v_pk_add_f16 v6, v41, v24 neg_lo:[0,1] neg_hi:[0,1]
	v_pk_add_f16 v58, v42, v37 neg_lo:[0,1] neg_hi:[0,1]
	v_fma_f16 v0, v7, s4, v0
	v_pk_add_f16 v57, v24, v37 neg_lo:[0,1] neg_hi:[0,1]
	v_pk_add_f16 v6, v58, v6
	v_pk_add_f16 v58, v42, v41
	v_sub_f16_sdwa v61, v41, v24 dst_sel:DWORD dst_unused:UNUSED_PAD src0_sel:WORD_1 src1_sel:WORD_1
	v_sub_f16_sdwa v62, v42, v37 dst_sel:DWORD dst_unused:UNUSED_PAD src0_sel:WORD_1 src1_sel:WORD_1
	v_fma_f16 v0, v55, s10, v0
	v_pk_add_f16 v55, v41, v42 neg_lo:[0,1] neg_hi:[0,1]
	v_pk_add_f16 v59, v24, v41 neg_lo:[0,1] neg_hi:[0,1]
	;; [unrolled: 1-line block ×3, first 2 shown]
	v_add_f16_e32 v61, v62, v61
	v_pk_fma_f16 v58, v58, 0.5, v52 op_sel_hi:[1,0,1] neg_lo:[1,0,0] neg_hi:[1,0,0]
	v_pk_mul_f16 v62, v57, s0 op_sel_hi:[1,0]
	v_pk_add_f16 v59, v60, v59
	v_pk_add_f16 v63, v62, v58 op_sel:[1,0] op_sel_hi:[0,1]
	v_pk_mul_f16 v60, v55, s1 op_sel_hi:[1,0]
	v_pk_add_f16 v58, v58, v62 op_sel:[0,1] op_sel_hi:[1,0] neg_lo:[0,1] neg_hi:[0,1]
	v_pk_add_f16 v63, v63, v60 op_sel:[0,1] op_sel_hi:[1,0] neg_lo:[0,1] neg_hi:[0,1]
	v_pk_add_f16 v58, v60, v58 op_sel:[1,0] op_sel_hi:[0,1]
	v_pk_fma_f16 v77, v59, s10, v63 op_sel_hi:[1,0,1]
	v_pk_fma_f16 v78, v59, s10, v58 op_sel_hi:[1,0,1]
	v_lshrrev_b32_e32 v59, 16, v77
	v_mul_f16_e32 v58, 0x34f2, v78
	v_fma_f16 v58, v59, s0, v58
	v_mul_f16_e32 v59, 0x34f2, v77
	v_lshrrev_b32_e32 v60, 16, v78
	v_add_f16_e32 v65, v37, v24
	s_mov_b32 s11, 0xffff
	v_fma_f16 v59, v60, s0, -v59
	v_fma_f16 v65, v65, -0.5, v52
	v_bfi_b32 v6, s11, v6, v57
	s_mov_b32 s12, 0x38b434f2
	v_lshrrev_b32_e32 v67, 16, v55
	v_add_f16_e32 v60, v56, v58
	v_add_f16_e32 v62, v0, v59
	v_pk_mul_f16 v66, v6, s12
	v_fma_f16 v6, v67, s0, v65
	v_pack_b32_f16 v60, v60, v62
	v_add_f16_e32 v62, v21, v20
	v_add_f16_sdwa v6, v66, v6 dst_sel:DWORD dst_unused:UNUSED_PAD src0_sel:WORD_1 src1_sel:DWORD
	v_fma_f16 v62, v62, -0.5, v51
	v_add_f16_e32 v79, v66, v6
	v_lshrrev_b32_e32 v80, 16, v52
	v_add_f16_sdwa v6, v37, v24 dst_sel:DWORD dst_unused:UNUSED_PAD src0_sel:WORD_1 src1_sel:WORD_1
	v_fma_f16 v63, v7, s0, v62
	v_add_f16_e32 v64, v41, v52
	v_fma_f16 v52, v6, -0.5, v80
	v_fma_f16 v7, v7, s5, v62
	v_add_f16_e32 v51, v23, v51
	v_fma_f16 v63, v53, s1, v63
	v_fma_f16 v6, v55, s5, v52
	;; [unrolled: 1-line block ×4, first 2 shown]
	v_add_f16_e32 v51, v20, v51
	v_add_f16_e32 v64, v24, v64
	v_fma_f16 v6, v57, s4, v6
	v_sub_f16_sdwa v53, v53, v66 dst_sel:DWORD dst_unused:UNUSED_PAD src0_sel:DWORD src1_sel:WORD_1
	v_fma_f16 v52, v55, s0, v52
	v_add_f16_e32 v51, v21, v51
	v_add_f16_e32 v64, v37, v64
	v_fma_f16 v81, v61, s10, v6
	v_mul_f16_e32 v6, 0x3a79, v79
	v_add_f16_e32 v82, v66, v53
	v_fma_f16 v52, v57, s1, v52
	v_add_f16_e32 v51, v22, v51
	v_fma_f16 v63, v54, s10, v63
	;; [unrolled: 2-line block ×3, first 2 shown]
	v_fma_f16 v7, v54, s10, v7
	v_fma_f16 v83, v61, s10, v52
	v_sub_f16_e32 v53, v25, v27
	v_sub_f16_e32 v54, v29, v28
	v_mul_f16_e32 v55, 0x3a79, v82
	v_add_f16_e32 v6, v64, v51
	v_add_f16_e32 v69, v63, v68
	v_sub_f16_e32 v52, v63, v68
	v_add_f16_e32 v53, v54, v53
	v_sub_f16_e32 v54, v56, v58
	v_fma_f16 v55, v83, s1, -v55
	v_pack_b32_f16 v69, v6, v69
	v_mul_u32_u24_e32 v6, 10, v26
	v_sub_f16_e32 v51, v51, v64
	v_pack_b32_f16 v52, v52, v54
	v_add_f16_e32 v54, v7, v55
	v_lshl_add_u32 v6, v6, 1, 0
	v_pack_b32_f16 v51, v54, v51
	ds_write2_b32 v6, v51, v52 offset0:2 offset1:3
	v_sub_f16_e32 v51, v27, v25
	v_sub_f16_e32 v52, v28, v29
	v_add_f16_e32 v51, v52, v51
	v_add_f16_e32 v52, v29, v25
	v_fma_f16 v52, v52, -0.5, v48
	v_sub_f16_e32 v56, v38, v34
	v_sub_f16_e32 v54, v35, v33
	v_fma_f16 v57, v56, s5, v52
	v_fma_f16 v52, v56, s0, v52
	v_fma_f16 v57, v54, s1, v57
	v_fma_f16 v52, v54, s4, v52
	v_fma_f16 v57, v51, s10, v57
	v_fma_f16 v51, v51, s10, v52
	v_pk_add_f16 v52, v31, v30 neg_lo:[0,1] neg_hi:[0,1]
	v_pk_add_f16 v58, v36, v32 neg_lo:[0,1] neg_hi:[0,1]
	ds_write2_b32 v6, v69, v60 offset1:1
	v_pk_add_f16 v52, v58, v52
	v_sub_f16_sdwa v58, v31, v30 dst_sel:DWORD dst_unused:UNUSED_PAD src0_sel:WORD_1 src1_sel:WORD_1
	v_sub_f16_sdwa v60, v36, v32 dst_sel:DWORD dst_unused:UNUSED_PAD src0_sel:WORD_1 src1_sel:WORD_1
	v_add_f16_e32 v58, v60, v58
	v_pk_add_f16 v60, v30, v31 neg_lo:[0,1] neg_hi:[0,1]
	v_pk_add_f16 v61, v32, v36 neg_lo:[0,1] neg_hi:[0,1]
	;; [unrolled: 1-line block ×3, first 2 shown]
	v_pk_add_f16 v60, v61, v60
	v_pk_add_f16 v61, v36, v31
	v_pk_mul_f16 v63, v62, s0 op_sel_hi:[1,0]
	v_pk_fma_f16 v61, v61, 0.5, v50 op_sel_hi:[1,0,1] neg_lo:[1,0,0] neg_hi:[1,0,0]
	v_add_f16_e32 v70, v32, v30
	v_pk_add_f16 v64, v63, v61 op_sel:[1,0] op_sel_hi:[0,1]
	v_pk_add_f16 v61, v61, v63 op_sel:[0,1] op_sel_hi:[1,0] neg_lo:[0,1] neg_hi:[0,1]
	v_pk_add_f16 v63, v31, v36 neg_lo:[0,1] neg_hi:[0,1]
	v_add_f16_e32 v69, v31, v50
	v_pk_mul_f16 v65, v63, s1 op_sel_hi:[1,0]
	v_fma_f16 v70, v70, -0.5, v50
	v_pk_add_f16 v64, v64, v65 op_sel:[0,1] op_sel_hi:[1,0] neg_lo:[0,1] neg_hi:[0,1]
	v_pk_add_f16 v61, v65, v61 op_sel:[1,0] op_sel_hi:[0,1]
	v_pk_fma_f16 v64, v60, s10, v64 op_sel_hi:[1,0,1]
	v_pk_fma_f16 v60, v60, s10, v61 op_sel_hi:[1,0,1]
	v_lshrrev_b32_e32 v65, 16, v64
	v_mul_f16_e32 v61, 0x34f2, v60
	v_fma_f16 v61, v65, s0, v61
	v_mul_f16_e32 v65, 0x34f2, v64
	v_lshrrev_b32_e32 v66, 16, v60
	v_fma_f16 v65, v66, s0, -v65
	v_add_f16_e32 v66, v57, v61
	v_add_f16_e32 v67, v51, v65
	v_pack_b32_f16 v66, v66, v67
	v_add_f16_e32 v67, v28, v27
	v_fma_f16 v67, v67, -0.5, v48
	v_fma_f16 v68, v54, s0, v67
	v_bfi_b32 v52, s11, v52, v62
	v_lshrrev_b32_e32 v71, 16, v63
	v_lshrrev_b32_e32 v50, 16, v50
	v_add_f16_sdwa v73, v32, v30 dst_sel:DWORD dst_unused:UNUSED_PAD src0_sel:WORD_1 src1_sel:WORD_1
	v_fma_f16 v54, v54, s5, v67
	v_fma_f16 v68, v56, s1, v68
	v_pk_mul_f16 v52, v52, s12
	v_fma_f16 v72, v71, s0, v70
	v_fma_f16 v73, v73, -0.5, v50
	v_fma_f16 v54, v56, s4, v54
	v_fma_f16 v68, v53, s10, v68
	v_add_f16_sdwa v72, v52, v72 dst_sel:DWORD dst_unused:UNUSED_PAD src0_sel:WORD_1 src1_sel:DWORD
	v_fma_f16 v74, v63, s5, v73
	v_fma_f16 v53, v53, s10, v54
	;; [unrolled: 1-line block ×3, first 2 shown]
	v_add_f16_e32 v72, v52, v72
	v_fma_f16 v74, v62, s4, v74
	v_sub_f16_sdwa v54, v54, v52 dst_sel:DWORD dst_unused:UNUSED_PAD src0_sel:DWORD src1_sel:WORD_1
	v_fma_f16 v74, v58, s10, v74
	v_mul_f16_e32 v75, 0x3a79, v72
	v_add_f16_e32 v85, v52, v54
	v_fma_f16 v52, v63, s0, v73
	v_add_f16_e32 v48, v25, v48
	v_fma_f16 v75, v74, s1, v75
	v_fma_f16 v52, v62, s1, v52
	v_add_f16_e32 v48, v27, v48
	v_add_f16_e32 v69, v30, v69
	v_fma_f16 v86, v58, s10, v52
	v_sub_f16_e32 v52, v68, v75
	v_sub_f16_e32 v54, v57, v61
	v_add_f16_e32 v48, v28, v48
	v_add_f16_e32 v69, v32, v69
	v_pack_b32_f16 v52, v52, v54
	v_mul_f16_e32 v54, 0x3a79, v85
	v_add_f16_e32 v48, v29, v48
	v_add_f16_e32 v69, v36, v69
	v_fma_f16 v54, v86, s1, -v54
	v_add_f16_e32 v76, v69, v48
	v_sub_f16_e32 v48, v48, v69
	v_add_f16_e32 v56, v53, v54
	v_pack_b32_f16 v48, v56, v48
	v_add_u32_e32 v87, 0x65c, v6
	ds_write2_b32 v87, v48, v52 offset1:1
	v_sub_f16_e32 v48, v9, v1
	v_sub_f16_e32 v52, v12, v8
	v_add_f16_e32 v48, v52, v48
	v_sub_f16_e32 v52, v1, v9
	v_sub_f16_e32 v56, v8, v12
	v_add_f16_e32 v52, v56, v52
	v_add_f16_e32 v56, v12, v9
	v_fma_f16 v56, v56, -0.5, v40
	v_sub_f16_e32 v58, v14, v11
	v_sub_f16_e32 v57, v15, v10
	v_fma_f16 v61, v58, s5, v56
	v_fma_f16 v56, v58, s0, v56
	;; [unrolled: 1-line block ×4, first 2 shown]
	v_add_f16_e32 v84, v68, v75
	v_fma_f16 v61, v52, s10, v61
	v_fma_f16 v52, v52, s10, v56
	s_waitcnt vmcnt(0)
	v_pk_add_f16 v56, v17, v19 neg_lo:[0,1] neg_hi:[0,1]
	v_pk_add_f16 v62, v18, v16 neg_lo:[0,1] neg_hi:[0,1]
	v_pack_b32_f16 v76, v76, v84
	v_add_u32_e32 v84, 0x654, v6
	v_pk_add_f16 v56, v62, v56
	v_sub_f16_sdwa v62, v17, v19 dst_sel:DWORD dst_unused:UNUSED_PAD src0_sel:WORD_1 src1_sel:WORD_1
	v_sub_f16_sdwa v63, v18, v16 dst_sel:DWORD dst_unused:UNUSED_PAD src0_sel:WORD_1 src1_sel:WORD_1
	ds_write2_b32 v84, v76, v66 offset1:1
	v_add_f16_e32 v62, v63, v62
	v_pk_add_f16 v63, v19, v17 neg_lo:[0,1] neg_hi:[0,1]
	v_pk_add_f16 v66, v16, v18 neg_lo:[0,1] neg_hi:[0,1]
	;; [unrolled: 1-line block ×3, first 2 shown]
	v_pk_add_f16 v63, v66, v63
	v_pk_add_f16 v66, v18, v17
	v_pk_mul_f16 v68, v67, s0 op_sel_hi:[1,0]
	v_pk_fma_f16 v66, v66, 0.5, v43 op_sel_hi:[1,0,1] neg_lo:[1,0,0] neg_hi:[1,0,0]
	v_add_f16_e32 v75, v16, v19
	v_pk_add_f16 v69, v68, v66 op_sel:[1,0] op_sel_hi:[0,1]
	v_pk_add_f16 v66, v66, v68 op_sel:[0,1] op_sel_hi:[1,0] neg_lo:[0,1] neg_hi:[0,1]
	v_pk_add_f16 v68, v17, v18 neg_lo:[0,1] neg_hi:[0,1]
	v_add_f16_e32 v73, v17, v43
	v_pk_mul_f16 v70, v68, s1 op_sel_hi:[1,0]
	v_fma_f16 v75, v75, -0.5, v43
	v_pk_add_f16 v69, v69, v70 op_sel:[0,1] op_sel_hi:[1,0] neg_lo:[0,1] neg_hi:[0,1]
	v_pk_add_f16 v66, v70, v66 op_sel:[1,0] op_sel_hi:[0,1]
	v_pk_fma_f16 v88, v63, s10, v69 op_sel_hi:[1,0,1]
	v_pk_fma_f16 v89, v63, s10, v66 op_sel_hi:[1,0,1]
	v_lshrrev_b32_e32 v66, 16, v88
	v_mul_f16_e32 v63, 0x34f2, v89
	v_fma_f16 v63, v66, s0, v63
	v_mul_f16_e32 v66, 0x34f2, v88
	v_lshrrev_b32_e32 v69, 16, v89
	v_fma_f16 v66, v69, s0, -v66
	v_add_f16_e32 v69, v61, v63
	v_add_f16_e32 v70, v52, v66
	v_bfi_b32 v56, s11, v56, v67
	v_lshrrev_b32_e32 v76, 16, v68
	v_lshrrev_b32_e32 v91, 16, v43
	v_add_f16_sdwa v43, v16, v19 dst_sel:DWORD dst_unused:UNUSED_PAD src0_sel:WORD_1 src1_sel:WORD_1
	v_sub_f16_e32 v97, v25, v29
	v_sub_f16_e32 v98, v27, v28
	;; [unrolled: 1-line block ×4, first 2 shown]
	v_pack_b32_f16 v69, v69, v70
	v_add_f16_e32 v70, v8, v1
	v_pk_mul_f16 v56, v56, s12
	v_fma_f16 v90, v76, s0, v75
	v_fma_f16 v43, v43, -0.5, v91
	v_add_f16_e32 v99, v27, v25
	v_add_f16_e32 v27, v35, v39
	v_fma_f16 v70, v70, -0.5, v40
	v_add_f16_e32 v40, v9, v40
	v_add_f16_sdwa v90, v56, v90 dst_sel:DWORD dst_unused:UNUSED_PAD src0_sel:WORD_1 src1_sel:DWORD
	v_fma_f16 v92, v68, s5, v43
	v_add_f16_e32 v27, v38, v27
	v_add_f16_e32 v40, v1, v40
	v_fma_f16 v71, v57, s0, v70
	v_add_f16_e32 v73, v19, v73
	v_add_f16_e32 v90, v56, v90
	;; [unrolled: 3-line block ×3, first 2 shown]
	v_fma_f16 v71, v58, s1, v71
	v_add_f16_e32 v73, v16, v73
	v_fma_f16 v92, v62, s10, v92
	v_mul_f16_e32 v93, 0x3a79, v90
	v_fma_f16 v57, v57, s5, v70
	v_sub_f16_e32 v28, v38, v35
	v_add_f16_e32 v101, v33, v27
	v_sub_f16_e32 v27, v34, v33
	v_add_f16_e32 v40, v12, v40
	v_fma_f16 v71, v48, s10, v71
	v_add_f16_e32 v73, v18, v73
	v_fma_f16 v93, v92, s1, v93
	v_fma_f16 v57, v58, s4, v57
	v_add_f16_e32 v25, v34, v38
	v_add_f16_e32 v27, v27, v28
	v_add_f16_sdwa v28, v31, v50 dst_sel:DWORD dst_unused:UNUSED_PAD src0_sel:WORD_1 src1_sel:DWORD
	v_add_f16_e32 v94, v73, v40
	v_add_f16_e32 v95, v71, v93
	v_fma_f16 v48, v48, s10, v57
	v_fma_f16 v57, v76, s5, v75
	;; [unrolled: 1-line block ×3, first 2 shown]
	v_sub_f16_e32 v7, v7, v55
	v_fma_f16 v100, v25, -0.5, v39
	v_add_f16_e32 v25, v33, v35
	v_add_f16_sdwa v28, v30, v28 dst_sel:DWORD dst_unused:UNUSED_PAD src0_sel:WORD_1 src1_sel:DWORD
	v_sub_f16_e32 v0, v0, v59
	v_pack_b32_f16 v94, v94, v95
	v_add_u32_e32 v95, 0xca8, v6
	v_sub_f16_sdwa v57, v57, v56 dst_sel:DWORD dst_unused:UNUSED_PAD src0_sel:DWORD src1_sel:WORD_1
	v_fma_f16 v43, v67, s1, v43
	v_fma_f16 v25, v25, -0.5, v39
	v_add_f16_sdwa v28, v32, v28 dst_sel:DWORD dst_unused:UNUSED_PAD src0_sel:WORD_1 src1_sel:DWORD
	v_pack_b32_f16 v0, v0, v7
	ds_write2_b32 v95, v94, v69 offset1:1
	v_add_f16_e32 v94, v56, v57
	v_fma_f16 v96, v62, s10, v43
	v_sub_f16_e32 v43, v71, v93
	v_sub_f16_e32 v56, v61, v63
	v_add_f16_sdwa v102, v36, v28 dst_sel:DWORD dst_unused:UNUSED_PAD src0_sel:WORD_1 src1_sel:DWORD
	s_movk_i32 s12, 0x3a79
	v_mul_f16_e32 v28, 0xb8b4, v72
	ds_write_b32 v6, v0 offset:16
	v_fma_f16 v0, v98, s0, v25
	v_fma_f16 v7, v98, s5, v25
	v_pack_b32_f16 v43, v43, v56
	v_mul_f16_e32 v56, 0x3a79, v94
	v_fma_f16 v103, v74, s12, v28
	v_sub_f16_e32 v28, v53, v54
	v_fma_f16 v0, v97, s4, v0
	v_fma_f16 v7, v97, s1, v7
	v_sub_f16_e32 v25, v51, v65
	v_fma_f16 v56, v96, s1, -v56
	v_pack_b32_f16 v0, v7, v0
	v_mul_f16_e32 v7, 0x34f2, v27
	s_mov_b32 s14, 0x34f23b9c
	v_pack_b32_f16 v25, v25, v28
	v_fma_f16 v27, v97, s5, v100
	v_sub_f16_e32 v29, v48, v56
	v_pk_add_f16 v0, v7, v0 op_sel_hi:[0,1]
	s_mov_b32 s13, 0x34f2bb9c
	v_pk_mul_f16 v7, v60, s14
	ds_write_b32 v6, v25 offset:1636
	v_sub_f16_e32 v25, v52, v66
	v_fma_f16 v27, v98, s4, v27
	v_sub_f16_e32 v40, v40, v73
	v_add_f16_e32 v57, v48, v56
	v_pk_fma_f16 v7, v64, s13, v7 op_sel:[0,0,1] op_sel_hi:[1,1,0] neg_lo:[0,0,1] neg_hi:[0,0,1]
	v_fma_f16 v104, v99, s10, v27
	v_pack_b32_f16 v25, v25, v29
	v_pack_b32_f16 v40, v57, v40
	v_add_u32_e32 v93, 0xcb0, v6
	v_add_f16_e32 v27, v102, v101
	ds_write_b32 v6, v25 offset:3256
	v_add_f16_e32 v25, v104, v103
	s_movk_i32 s15, 0xffee
	v_pk_add_f16 v106, v0, v7
	ds_write2_b32 v93, v40, v43 offset1:1
	v_pack_b32_f16 v105, v27, v25
	v_mad_i32_i24 v27, v26, s15, v6
	v_add_u32_e32 v35, 0x195, v26
	v_add_u32_e32 v34, 0x144, v26
	;; [unrolled: 1-line block ×6, first 2 shown]
	v_alignbit_b32 v106, v106, v106, 16
	s_load_dwordx2 s[2:3], s[2:3], 0x0
	s_waitcnt lgkmcnt(0)
	s_barrier
	v_lshl_add_u32 v28, v34, 1, 0
	v_lshl_add_u32 v29, v35, 1, 0
	;; [unrolled: 1-line block ×6, first 2 shown]
	ds_read_u16 v56, v27
	ds_read_u16 v55, v27 offset:162
	ds_read_u16 v52, v27 offset:324
	;; [unrolled: 1-line block ×12, first 2 shown]
	ds_read_u16 v54, v28
	ds_read_u16 v51, v29
	;; [unrolled: 1-line block ×6, first 2 shown]
	ds_read_u16 v74, v27 offset:3402
	ds_read_u16 v75, v27 offset:3240
	;; [unrolled: 1-line block ×11, first 2 shown]
	s_waitcnt lgkmcnt(0)
	s_barrier
	ds_write2_b32 v84, v105, v106 offset1:1
	v_fma_f16 v84, v97, s0, v100
	v_fma_f16 v84, v98, s1, v84
	v_mul_f16_e32 v86, 0x3a79, v86
	v_fma_f16 v84, v99, s10, v84
	v_fma_f16 v85, v85, s4, -v86
	v_bfi_b32 v97, s11, v104, v0
	v_bfi_b32 v98, s11, v103, v7
	v_sub_f16_e32 v86, v101, v102
	v_pk_add_f16 v97, v97, v98 neg_lo:[0,1] neg_hi:[0,1]
	v_add_f16_e32 v98, v84, v85
	v_pack_b32_f16 v86, v98, v86
	v_sub_f16_e32 v22, v23, v22
	v_sub_f16_e32 v20, v20, v21
	;; [unrolled: 1-line block ×4, first 2 shown]
	ds_write2_b32 v87, v86, v97 offset1:1
	v_add_f16_e32 v21, v23, v21
	v_add_f16_e32 v23, v45, v46
	;; [unrolled: 1-line block ×3, first 2 shown]
	v_fma_f16 v23, v23, -0.5, v49
	v_fma_f16 v86, v86, -0.5, v49
	v_add_f16_e32 v49, v47, v49
	v_add_f16_sdwa v41, v41, v80 dst_sel:DWORD dst_unused:UNUSED_PAD src0_sel:WORD_1 src1_sel:DWORD
	v_add_f16_e32 v49, v46, v49
	v_add_f16_sdwa v24, v24, v41 dst_sel:DWORD dst_unused:UNUSED_PAD src0_sel:WORD_1 src1_sel:DWORD
	v_sub_f16_e32 v46, v46, v47
	v_add_f16_e32 v47, v45, v49
	v_add_f16_sdwa v24, v37, v24 dst_sel:DWORD dst_unused:UNUSED_PAD src0_sel:WORD_1 src1_sel:DWORD
	v_add_f16_e32 v47, v44, v47
	v_sub_f16_e32 v44, v45, v44
	v_add_f16_sdwa v24, v42, v24 dst_sel:DWORD dst_unused:UNUSED_PAD src0_sel:WORD_1 src1_sel:DWORD
	v_fma_f16 v41, v20, s0, v86
	v_fma_f16 v42, v20, s5, v86
	v_add_f16_e32 v44, v44, v46
	v_fma_f16 v41, v22, s4, v41
	v_fma_f16 v42, v22, s1, v42
	v_pack_b32_f16 v41, v42, v41
	v_mul_f16_e32 v42, 0x34f2, v44
	v_fma_f16 v44, v22, s5, v23
	v_fma_f16 v22, v22, s0, v23
	v_mul_f16_e32 v37, 0xb8b4, v79
	v_pk_add_f16 v41, v42, v41 op_sel_hi:[0,1]
	v_pk_mul_f16 v42, v78, s14
	v_fma_f16 v44, v20, s4, v44
	v_fma_f16 v20, v20, s1, v22
	;; [unrolled: 1-line block ×3, first 2 shown]
	v_pk_fma_f16 v42, v77, s13, v42 op_sel:[0,0,1] op_sel_hi:[1,1,0] neg_lo:[0,0,1] neg_hi:[0,0,1]
	v_fma_f16 v44, v21, s10, v44
	v_fma_f16 v20, v21, s10, v20
	v_mul_f16_e32 v21, 0x3a79, v83
	v_add_f16_e32 v45, v24, v47
	v_fma_f16 v21, v82, s4, -v21
	v_sub_f16_e32 v22, v47, v24
	v_bfi_b32 v23, s11, v44, v41
	v_bfi_b32 v24, s11, v37, v42
	v_sub_f16_e32 v9, v9, v12
	v_sub_f16_e32 v1, v1, v8
	;; [unrolled: 1-line block ×4, first 2 shown]
	v_pk_add_f16 v23, v23, v24 neg_lo:[0,1] neg_hi:[0,1]
	v_add_f16_e32 v24, v20, v21
	v_add_f16_e32 v8, v12, v8
	;; [unrolled: 1-line block ×3, first 2 shown]
	v_pack_b32_f16 v22, v24, v22
	v_fma_f16 v12, v12, -0.5, v13
	ds_write2_b32 v6, v22, v23 offset0:2 offset1:3
	v_fma_f16 v22, v9, s5, v12
	v_fma_f16 v12, v9, s0, v12
	;; [unrolled: 1-line block ×6, first 2 shown]
	v_add_f16_e32 v12, v10, v15
	v_fma_f16 v12, v12, -0.5, v13
	v_add_f16_e32 v13, v15, v13
	v_add_f16_e32 v13, v14, v13
	;; [unrolled: 1-line block ×4, first 2 shown]
	v_sub_f16_e32 v10, v11, v10
	v_fma_f16 v11, v1, s0, v12
	v_fma_f16 v1, v1, s5, v12
	v_sub_f16_e32 v14, v14, v15
	v_fma_f16 v11, v9, s4, v11
	v_fma_f16 v1, v9, s1, v1
	v_add_f16_sdwa v9, v17, v91 dst_sel:DWORD dst_unused:UNUSED_PAD src0_sel:WORD_1 src1_sel:DWORD
	v_add_f16_e32 v10, v10, v14
	v_add_f16_sdwa v9, v19, v9 dst_sel:DWORD dst_unused:UNUSED_PAD src0_sel:WORD_1 src1_sel:DWORD
	v_add_f16_sdwa v9, v16, v9 dst_sel:DWORD dst_unused:UNUSED_PAD src0_sel:WORD_1 src1_sel:DWORD
	v_mul_f16_e32 v14, 0x3a79, v96
	v_sub_f16_e32 v0, v0, v7
	v_pack_b32_f16 v1, v1, v11
	v_mul_f16_e32 v7, 0x34f2, v10
	v_add_f16_sdwa v9, v18, v9 dst_sel:DWORD dst_unused:UNUSED_PAD src0_sel:WORD_1 src1_sel:DWORD
	v_mul_f16_e32 v12, 0xb8b4, v90
	v_fma_f16 v14, v94, s4, -v14
	v_pk_add_f16 v1, v7, v1 op_sel_hi:[0,1]
	v_pk_mul_f16 v7, v89, s14
	v_sub_f16_e32 v20, v20, v21
	v_sub_f16_e32 v21, v84, v85
	v_fma_f16 v12, v92, s12, v12
	v_add_f16_e32 v15, v9, v13
	v_sub_f16_e32 v9, v13, v9
	v_add_f16_e32 v13, v8, v14
	v_sub_f16_e32 v8, v8, v14
	v_sub_f16_e32 v14, v41, v42
	v_pk_fma_f16 v7, v88, s13, v7 op_sel:[0,0,1] op_sel_hi:[1,1,0] neg_lo:[0,0,1] neg_hi:[0,0,1]
	v_add_f16_e32 v10, v22, v12
	v_pack_b32_f16 v11, v14, v20
	v_pk_add_f16 v14, v1, v7
	v_pack_b32_f16 v0, v0, v21
	ds_write_b32 v6, v0 offset:1636
	v_alignbit_b32 v0, v14, v14, 16
	v_pack_b32_f16 v10, v15, v10
	ds_write_b32 v6, v11 offset:16
	v_sub_f16_e32 v11, v1, v7
	ds_write2_b32 v95, v10, v0 offset1:1
	v_bfi_b32 v0, s11, v22, v1
	v_bfi_b32 v1, s11, v12, v7
	v_pk_add_f16 v0, v0, v1 neg_lo:[0,1] neg_hi:[0,1]
	v_pack_b32_f16 v1, v13, v9
	ds_write2_b32 v93, v1, v0 offset1:1
	v_pack_b32_f16 v0, v11, v8
	s_movk_i32 s0, 0xcd
	ds_write_b32 v6, v0 offset:3256
	v_mul_lo_u16_sdwa v0, v26, s0 dst_sel:DWORD dst_unused:UNUSED_PAD src0_sel:BYTE_0 src1_sel:DWORD
	v_lshrrev_b16_e32 v24, 11, v0
	v_add_f16_e32 v46, v44, v37
	v_mul_lo_u16_e32 v0, 10, v24
	v_pack_b32_f16 v45, v45, v46
	v_pk_add_f16 v46, v41, v42
	v_sub_u16_e32 v41, v26, v0
	v_mov_b32_e32 v20, 3
	v_alignbit_b32 v46, v46, v46, 16
	v_lshlrev_b32_sdwa v0, v20, v41 dst_sel:DWORD dst_unused:UNUSED_PAD src0_sel:DWORD src1_sel:BYTE_0
	ds_write2_b32 v6, v45, v46 offset1:1
	s_waitcnt lgkmcnt(0)
	s_barrier
	global_load_dwordx2 v[0:1], v0, s[8:9]
	v_add_u32_e32 v22, 0x51, v26
	v_mul_lo_u16_sdwa v6, v22, s0 dst_sel:DWORD dst_unused:UNUSED_PAD src0_sel:BYTE_0 src1_sel:DWORD
	v_lshrrev_b16_e32 v42, 11, v6
	v_mul_lo_u16_e32 v6, 10, v42
	v_sub_u16_e32 v44, v22, v6
	v_add_u32_e32 v23, 0xa2, v26
	v_lshlrev_b32_sdwa v6, v20, v44 dst_sel:DWORD dst_unused:UNUSED_PAD src0_sel:DWORD src1_sel:BYTE_0
	global_load_dwordx2 v[6:7], v6, s[8:9]
	v_mul_lo_u16_sdwa v8, v23, s0 dst_sel:DWORD dst_unused:UNUSED_PAD src0_sel:BYTE_0 src1_sel:DWORD
	v_lshrrev_b16_e32 v45, 11, v8
	v_mul_lo_u16_e32 v8, 10, v45
	v_sub_u16_e32 v46, v23, v8
	v_add_u32_e32 v37, 0xf3, v26
	s_mov_b32 s0, 0xcccd
	v_lshlrev_b32_sdwa v8, v20, v46 dst_sel:DWORD dst_unused:UNUSED_PAD src0_sel:DWORD src1_sel:BYTE_0
	global_load_dwordx2 v[8:9], v8, s[8:9]
	v_mul_u32_u24_sdwa v10, v37, s0 dst_sel:DWORD dst_unused:UNUSED_PAD src0_sel:WORD_0 src1_sel:DWORD
	v_lshrrev_b32_e32 v47, 19, v10
	v_mul_lo_u16_e32 v10, 10, v47
	v_sub_u16_e32 v49, v37, v10
	v_lshlrev_b32_e32 v10, 3, v49
	global_load_dwordx2 v[10:11], v10, s[8:9]
	v_mul_u32_u24_sdwa v12, v34, s0 dst_sel:DWORD dst_unused:UNUSED_PAD src0_sel:WORD_0 src1_sel:DWORD
	v_lshrrev_b32_e32 v77, 19, v12
	v_mul_lo_u16_e32 v12, 10, v77
	v_sub_u16_e32 v78, v34, v12
	v_lshlrev_b32_e32 v12, 3, v78
	v_mul_u32_u24_sdwa v13, v35, s0 dst_sel:DWORD dst_unused:UNUSED_PAD src0_sel:WORD_0 src1_sel:DWORD
	v_lshrrev_b32_e32 v79, 19, v13
	global_load_dwordx2 v[14:15], v12, s[8:9]
	v_mul_lo_u16_e32 v13, 10, v79
	v_sub_u16_e32 v84, v35, v13
	v_mul_u32_u24_sdwa v13, v36, s0 dst_sel:DWORD dst_unused:UNUSED_PAD src0_sel:WORD_0 src1_sel:DWORD
	v_lshlrev_b32_e32 v12, 3, v84
	v_lshrrev_b32_e32 v85, 19, v13
	v_mul_lo_u16_e32 v13, 10, v85
	global_load_dwordx2 v[18:19], v12, s[8:9]
	v_sub_u16_e32 v86, v36, v13
	v_mul_u32_u24_sdwa v13, v38, s0 dst_sel:DWORD dst_unused:UNUSED_PAD src0_sel:WORD_0 src1_sel:DWORD
	v_lshrrev_b32_e32 v87, 19, v13
	v_mul_lo_u16_e32 v12, 10, v87
	v_lshlrev_b32_e32 v21, 3, v86
	v_sub_u16_e32 v88, v38, v12
	v_lshlrev_b32_e32 v80, 3, v88
	global_load_dwordx2 v[16:17], v21, s[8:9]
	global_load_dwordx2 v[12:13], v80, s[8:9]
	ds_read_u16 v21, v27 offset:1620
	ds_read_u16 v89, v27 offset:1782
	;; [unrolled: 1-line block ×5, first 2 shown]
	v_mul_u32_u24_sdwa v82, v40, s0 dst_sel:DWORD dst_unused:UNUSED_PAD src0_sel:WORD_0 src1_sel:DWORD
	v_lshrrev_b32_e32 v96, 19, v82
	v_mul_lo_u16_e32 v82, 10, v96
	v_sub_u16_e32 v97, v40, v82
	v_lshlrev_b32_e32 v82, 3, v97
	s_movk_i32 s4, 0x3aee
	s_mov_b32 s5, 0xbaee
	v_mul_u32_u24_e32 v24, 60, v24
	s_mov_b32 s10, 0x5040100
	s_waitcnt vmcnt(7) lgkmcnt(4)
	v_mul_f16_sdwa v80, v21, v0 dst_sel:DWORD dst_unused:UNUSED_PAD src0_sel:DWORD src1_sel:WORD_1
	v_fma_f16 v93, v76, v0, -v80
	v_mul_u32_u24_sdwa v80, v39, s0 dst_sel:DWORD dst_unused:UNUSED_PAD src0_sel:WORD_0 src1_sel:DWORD
	v_lshrrev_b32_e32 v94, 19, v80
	v_mul_lo_u16_e32 v80, 10, v94
	v_sub_u16_e32 v95, v39, v80
	v_mul_f16_sdwa v76, v76, v0 dst_sel:DWORD dst_unused:UNUSED_PAD src0_sel:DWORD src1_sel:WORD_1
	v_lshlrev_b32_e32 v80, 3, v95
	v_fma_f16 v0, v21, v0, v76
	ds_read_u16 v21, v27 offset:3240
	ds_read_u16 v76, v27 offset:3402
	global_load_dwordx2 v[80:81], v80, s[8:9]
	s_movk_i32 s0, 0x89
	global_load_dwordx2 v[82:83], v82, s[8:9]
	s_waitcnt lgkmcnt(1)
	v_mul_f16_sdwa v104, v21, v1 dst_sel:DWORD dst_unused:UNUSED_PAD src0_sel:DWORD src1_sel:WORD_1
	v_fma_f16 v104, v75, v1, -v104
	v_mul_f16_sdwa v75, v75, v1 dst_sel:DWORD dst_unused:UNUSED_PAD src0_sel:DWORD src1_sel:WORD_1
	v_fma_f16 v1, v21, v1, v75
	s_waitcnt vmcnt(8)
	v_mul_f16_sdwa v21, v89, v6 dst_sel:DWORD dst_unused:UNUSED_PAD src0_sel:DWORD src1_sel:WORD_1
	v_fma_f16 v75, v73, v6, -v21
	v_mul_f16_sdwa v21, v73, v6 dst_sel:DWORD dst_unused:UNUSED_PAD src0_sel:DWORD src1_sel:WORD_1
	v_fma_f16 v6, v89, v6, v21
	s_waitcnt lgkmcnt(0)
	v_mul_f16_sdwa v21, v76, v7 dst_sel:DWORD dst_unused:UNUSED_PAD src0_sel:DWORD src1_sel:WORD_1
	v_fma_f16 v73, v74, v7, -v21
	v_mul_f16_sdwa v21, v74, v7 dst_sel:DWORD dst_unused:UNUSED_PAD src0_sel:DWORD src1_sel:WORD_1
	v_fma_f16 v7, v76, v7, v21
	s_waitcnt vmcnt(7)
	v_mul_f16_sdwa v21, v90, v8 dst_sel:DWORD dst_unused:UNUSED_PAD src0_sel:DWORD src1_sel:WORD_1
	v_fma_f16 v74, v70, v8, -v21
	v_mul_f16_sdwa v21, v70, v8 dst_sel:DWORD dst_unused:UNUSED_PAD src0_sel:DWORD src1_sel:WORD_1
	ds_read_u16 v98, v27 offset:2268
	ds_read_u16 v99, v27 offset:2430
	ds_read_u16 v100, v27 offset:2592
	ds_read_u16 v101, v27 offset:2754
	ds_read_u16 v102, v27 offset:2916
	ds_read_u16 v103, v27 offset:3078
	v_fma_f16 v8, v90, v8, v21
	ds_read_u16 v21, v27 offset:3564
	ds_read_u16 v70, v27 offset:3726
	;; [unrolled: 1-line block ×8, first 2 shown]
	s_waitcnt lgkmcnt(7)
	v_mul_f16_sdwa v108, v21, v9 dst_sel:DWORD dst_unused:UNUSED_PAD src0_sel:DWORD src1_sel:WORD_1
	v_fma_f16 v108, v72, v9, -v108
	v_mul_f16_sdwa v72, v72, v9 dst_sel:DWORD dst_unused:UNUSED_PAD src0_sel:DWORD src1_sel:WORD_1
	v_fma_f16 v9, v21, v9, v72
	s_waitcnt vmcnt(6)
	v_mul_f16_sdwa v21, v91, v10 dst_sel:DWORD dst_unused:UNUSED_PAD src0_sel:DWORD src1_sel:WORD_1
	v_fma_f16 v72, v67, v10, -v21
	v_mul_f16_sdwa v21, v67, v10 dst_sel:DWORD dst_unused:UNUSED_PAD src0_sel:DWORD src1_sel:WORD_1
	v_fma_f16 v10, v91, v10, v21
	s_waitcnt lgkmcnt(6)
	v_mul_f16_sdwa v21, v70, v11 dst_sel:DWORD dst_unused:UNUSED_PAD src0_sel:DWORD src1_sel:WORD_1
	v_fma_f16 v67, v71, v11, -v21
	v_mul_f16_sdwa v21, v71, v11 dst_sel:DWORD dst_unused:UNUSED_PAD src0_sel:DWORD src1_sel:WORD_1
	v_fma_f16 v11, v70, v11, v21
	s_waitcnt vmcnt(5)
	v_mul_f16_sdwa v21, v98, v14 dst_sel:DWORD dst_unused:UNUSED_PAD src0_sel:DWORD src1_sel:WORD_1
	v_fma_f16 v70, v66, v14, -v21
	v_mul_f16_sdwa v21, v66, v14 dst_sel:DWORD dst_unused:UNUSED_PAD src0_sel:DWORD src1_sel:WORD_1
	v_fma_f16 v14, v98, v14, v21
	;; [unrolled: 10-line block ×5, first 2 shown]
	s_waitcnt lgkmcnt(2)
	v_mul_f16_sdwa v21, v105, v13 dst_sel:DWORD dst_unused:UNUSED_PAD src0_sel:DWORD src1_sel:WORD_1
	v_fma_f16 v99, v63, v13, -v21
	v_mul_f16_sdwa v21, v63, v13 dst_sel:DWORD dst_unused:UNUSED_PAD src0_sel:DWORD src1_sel:WORD_1
	v_fma_f16 v13, v105, v13, v21
	v_sub_f16_e32 v60, v8, v9
	v_sub_f16_e32 v62, v10, v11
	v_lshlrev_b32_e32 v65, 1, v86
	s_waitcnt vmcnt(1)
	v_mul_f16_sdwa v21, v102, v80 dst_sel:DWORD dst_unused:UNUSED_PAD src0_sel:DWORD src1_sel:WORD_1
	v_fma_f16 v100, v57, v80, -v21
	v_mul_f16_sdwa v21, v57, v80 dst_sel:DWORD dst_unused:UNUSED_PAD src0_sel:DWORD src1_sel:WORD_1
	v_fma_f16 v80, v102, v80, v21
	s_waitcnt lgkmcnt(1)
	v_mul_f16_sdwa v21, v106, v81 dst_sel:DWORD dst_unused:UNUSED_PAD src0_sel:DWORD src1_sel:WORD_1
	v_fma_f16 v101, v61, v81, -v21
	v_mul_f16_sdwa v21, v61, v81 dst_sel:DWORD dst_unused:UNUSED_PAD src0_sel:DWORD src1_sel:WORD_1
	v_fma_f16 v81, v106, v81, v21
	s_waitcnt vmcnt(0)
	v_mul_f16_sdwa v21, v103, v82 dst_sel:DWORD dst_unused:UNUSED_PAD src0_sel:DWORD src1_sel:WORD_1
	v_fma_f16 v102, v58, v82, -v21
	v_mul_f16_sdwa v21, v58, v82 dst_sel:DWORD dst_unused:UNUSED_PAD src0_sel:DWORD src1_sel:WORD_1
	ds_read_u16 v58, v27
	v_fma_f16 v82, v103, v82, v21
	s_waitcnt lgkmcnt(1)
	v_mul_f16_sdwa v21, v107, v83 dst_sel:DWORD dst_unused:UNUSED_PAD src0_sel:DWORD src1_sel:WORD_1
	v_fma_f16 v103, v59, v83, -v21
	v_mul_f16_sdwa v21, v59, v83 dst_sel:DWORD dst_unused:UNUSED_PAD src0_sel:DWORD src1_sel:WORD_1
	v_fma_f16 v83, v107, v83, v21
	v_add_f16_e32 v21, v93, v104
	v_fma_f16 v21, v21, -0.5, v56
	v_sub_f16_e32 v57, v0, v1
	v_fma_f16 v59, v57, s4, v21
	v_fma_f16 v57, v57, s5, v21
	s_waitcnt lgkmcnt(0)
	v_add_f16_e32 v21, v58, v0
	v_add_f16_e32 v0, v0, v1
	;; [unrolled: 1-line block ×3, first 2 shown]
	v_fma_f16 v0, v0, -0.5, v58
	v_sub_f16_e32 v21, v93, v104
	v_add_f16_e32 v1, v56, v93
	v_fma_f16 v93, v21, s5, v0
	v_fma_f16 v0, v21, s4, v0
	v_add_f16_e32 v21, v75, v73
	v_fma_f16 v21, v21, -0.5, v55
	v_sub_f16_e32 v56, v6, v7
	v_fma_f16 v58, v56, s4, v21
	v_fma_f16 v56, v56, s5, v21
	v_add_f16_e32 v21, v74, v108
	v_fma_f16 v21, v21, -0.5, v52
	v_fma_f16 v61, v60, s4, v21
	v_fma_f16 v60, v60, s5, v21
	v_add_f16_e32 v21, v72, v67
	v_fma_f16 v21, v21, -0.5, v53
	v_fma_f16 v63, v62, s4, v21
	v_fma_f16 v62, v62, s5, v21
	v_mov_b32_e32 v21, 1
	v_lshlrev_b32_sdwa v41, v21, v41 dst_sel:DWORD dst_unused:UNUSED_PAD src0_sel:DWORD src1_sel:BYTE_0
	v_add_f16_e32 v1, v1, v104
	v_add3_u32 v104, 0, v24, v41
	v_lshlrev_b32_sdwa v24, v21, v44 dst_sel:DWORD dst_unused:UNUSED_PAD src0_sel:DWORD src1_sel:BYTE_0
	v_mul_u32_u24_e32 v41, 60, v42
	v_add3_u32 v109, 0, v41, v24
	v_lshlrev_b32_sdwa v24, v21, v46 dst_sel:DWORD dst_unused:UNUSED_PAD src0_sel:DWORD src1_sel:BYTE_0
	v_mul_u32_u24_e32 v41, 60, v45
	v_add3_u32 v110, 0, v41, v24
	v_lshlrev_b32_e32 v24, 1, v49
	v_mul_u32_u24_e32 v41, 60, v47
	v_add3_u32 v111, 0, v41, v24
	v_add_f16_e32 v24, v70, v91
	v_fma_f16 v24, v24, -0.5, v54
	v_sub_f16_e32 v41, v14, v15
	v_fma_f16 v42, v41, s4, v24
	v_fma_f16 v24, v41, s5, v24
	v_add_f16_e32 v41, v69, v76
	v_fma_f16 v41, v41, -0.5, v51
	v_sub_f16_e32 v44, v18, v19
	v_fma_f16 v45, v44, s4, v41
	v_fma_f16 v41, v44, s5, v41
	v_perm_b32 v44, v79, v77, s10
	v_pk_mul_lo_u16 v44, v44, 60 op_sel_hi:[1,0]
	v_lshlrev_b32_e32 v46, 1, v78
	v_and_b32_e32 v47, 0xfffc, v44
	v_add3_u32 v77, 0, v47, v46
	v_lshlrev_b32_e32 v46, 1, v84
	v_lshrrev_b32_e32 v44, 16, v44
	v_add3_u32 v78, 0, v44, v46
	v_add_f16_e32 v44, v89, v98
	v_fma_f16 v44, v44, -0.5, v50
	v_sub_f16_e32 v46, v16, v17
	v_fma_f16 v47, v46, s4, v44
	v_fma_f16 v44, v46, s5, v44
	v_add_f16_e32 v46, v90, v99
	v_fma_f16 v46, v46, -0.5, v48
	v_sub_f16_e32 v49, v12, v13
	v_fma_f16 v64, v49, s4, v46
	v_fma_f16 v46, v49, s5, v46
	v_perm_b32 v49, v87, v85, s10
	v_pk_mul_lo_u16 v49, v49, 60 op_sel_hi:[1,0]
	ds_read_u16 v105, v27 offset:162
	ds_read_u16 v106, v27 offset:324
	v_and_b32_e32 v66, 0xfffc, v49
	v_add3_u32 v79, 0, v66, v65
	v_lshlrev_b32_e32 v65, 1, v88
	ds_read_u16 v85, v28
	ds_read_u16 v86, v29
	;; [unrolled: 1-line block ×6, first 2 shown]
	s_waitcnt lgkmcnt(0)
	s_barrier
	ds_write_b16 v104, v1
	ds_write_b16 v104, v59 offset:20
	ds_write_b16 v104, v57 offset:40
	v_add_f16_e32 v1, v55, v75
	v_add_f16_e32 v1, v1, v73
	ds_write_b16 v109, v1
	ds_write_b16 v109, v58 offset:20
	ds_write_b16 v109, v56 offset:40
	v_add_f16_e32 v1, v52, v74
	v_add_f16_e32 v1, v1, v108
	;; [unrolled: 5-line block ×6, first 2 shown]
	v_lshrrev_b32_e32 v49, 16, v49
	ds_write_b16 v79, v1
	ds_write_b16 v79, v47 offset:20
	ds_write_b16 v79, v44 offset:40
	v_add_f16_e32 v1, v48, v90
	v_add3_u32 v84, 0, v49, v65
	v_add_f16_e32 v1, v1, v99
	ds_write_b16 v84, v1
	ds_write_b16 v84, v64 offset:20
	ds_write_b16 v84, v46 offset:40
	v_perm_b32 v1, v96, v94, s10
	v_pk_mul_lo_u16 v1, v1, 60 op_sel_hi:[1,0]
	v_lshlrev_b32_e32 v24, 1, v95
	v_and_b32_e32 v41, 0xfffc, v1
	v_add_f16_e32 v49, v100, v101
	v_add3_u32 v94, 0, v41, v24
	v_add_f16_e32 v24, v43, v100
	v_fma_f16 v49, v49, -0.5, v43
	v_sub_f16_e32 v65, v80, v81
	v_add_f16_e32 v24, v24, v101
	v_fma_f16 v66, v65, s4, v49
	v_fma_f16 v49, v65, s5, v49
	v_add_f16_e32 v65, v102, v103
	ds_write_b16 v94, v24
	ds_write_b16 v94, v66 offset:20
	ds_write_b16 v94, v49 offset:40
	v_lshlrev_b32_e32 v24, 1, v97
	v_lshrrev_b32_e32 v1, 16, v1
	v_fma_f16 v65, v65, -0.5, v25
	v_sub_f16_e32 v68, v82, v83
	v_add3_u32 v1, 0, v1, v24
	v_add_f16_e32 v24, v25, v102
	v_fma_f16 v71, v68, s4, v65
	v_fma_f16 v65, v68, s5, v65
	v_add_f16_e32 v24, v24, v103
	ds_write_b16 v1, v24
	ds_write_b16 v1, v71 offset:20
	ds_write_b16 v1, v65 offset:40
	s_waitcnt lgkmcnt(0)
	s_barrier
	ds_read_u16 v48, v27
	ds_read_u16 v47, v27 offset:162
	ds_read_u16 v44, v27 offset:324
	;; [unrolled: 1-line block ×12, first 2 shown]
	ds_read_u16 v46, v28
	ds_read_u16 v43, v29
	;; [unrolled: 1-line block ×6, first 2 shown]
	ds_read_u16 v66, v27 offset:3402
	ds_read_u16 v71, v27 offset:3240
	;; [unrolled: 1-line block ×11, first 2 shown]
	s_waitcnt lgkmcnt(0)
	s_barrier
	ds_write_b16 v104, v107
	ds_write_b16 v104, v93 offset:20
	ds_write_b16 v104, v0 offset:40
	v_add_f16_e32 v0, v105, v6
	v_add_f16_e32 v6, v6, v7
	;; [unrolled: 1-line block ×3, first 2 shown]
	v_fma_f16 v6, v6, -0.5, v105
	v_sub_f16_e32 v7, v75, v73
	v_fma_f16 v73, v7, s5, v6
	v_fma_f16 v6, v7, s4, v6
	ds_write_b16 v109, v0
	ds_write_b16 v109, v73 offset:20
	ds_write_b16 v109, v6 offset:40
	v_add_f16_e32 v6, v8, v9
	v_add_f16_e32 v0, v106, v8
	v_fma_f16 v6, v6, -0.5, v106
	v_sub_f16_e32 v7, v74, v108
	v_add_f16_e32 v0, v0, v9
	v_fma_f16 v8, v7, s5, v6
	v_fma_f16 v6, v7, s4, v6
	ds_write_b16 v110, v0
	ds_write_b16 v110, v8 offset:20
	ds_write_b16 v110, v6 offset:40
	v_add_f16_e32 v6, v10, v11
	v_add_f16_e32 v0, v92, v10
	v_fma_f16 v6, v6, -0.5, v92
	v_sub_f16_e32 v7, v72, v67
	v_add_f16_e32 v0, v0, v11
	;; [unrolled: 10-line block ×5, first 2 shown]
	v_fma_f16 v8, v7, s5, v6
	v_fma_f16 v6, v7, s4, v6
	ds_write_b16 v79, v0
	ds_write_b16 v79, v8 offset:20
	ds_write_b16 v79, v6 offset:40
	v_add_f16_e32 v6, v12, v13
	v_add_f16_e32 v9, v80, v81
	;; [unrolled: 1-line block ×3, first 2 shown]
	v_fma_f16 v6, v6, -0.5, v88
	v_sub_f16_e32 v7, v90, v99
	v_fma_f16 v9, v9, -0.5, v112
	v_sub_f16_e32 v10, v100, v101
	v_add_f16_e32 v12, v82, v83
	v_add_f16_e32 v0, v0, v13
	v_fma_f16 v8, v7, s5, v6
	v_fma_f16 v6, v7, s4, v6
	v_add_f16_e32 v7, v112, v80
	v_fma_f16 v11, v10, s5, v9
	v_fma_f16 v9, v10, s4, v9
	v_add_f16_e32 v10, v113, v82
	v_fma_f16 v12, v12, -0.5, v113
	v_sub_f16_e32 v13, v102, v103
	v_add_f16_e32 v7, v7, v81
	v_add_f16_e32 v10, v10, v83
	v_fma_f16 v14, v13, s5, v12
	v_fma_f16 v12, v13, s4, v12
	ds_write_b16 v84, v0
	ds_write_b16 v84, v8 offset:20
	ds_write_b16 v84, v6 offset:40
	ds_write_b16 v94, v7
	ds_write_b16 v94, v11 offset:20
	ds_write_b16 v94, v9 offset:40
	;; [unrolled: 3-line block ×3, first 2 shown]
	v_mul_lo_u16_sdwa v0, v26, s0 dst_sel:DWORD dst_unused:UNUSED_PAD src0_sel:BYTE_0 src1_sel:DWORD
	v_lshrrev_b16_e32 v67, 12, v0
	v_mul_lo_u16_e32 v0, 30, v67
	v_sub_u16_e32 v69, v26, v0
	v_lshlrev_b32_sdwa v0, v20, v69 dst_sel:DWORD dst_unused:UNUSED_PAD src0_sel:DWORD src1_sel:BYTE_0
	s_waitcnt lgkmcnt(0)
	s_barrier
	global_load_dwordx2 v[0:1], v0, s[8:9] offset:80
	v_mul_lo_u16_sdwa v6, v22, s0 dst_sel:DWORD dst_unused:UNUSED_PAD src0_sel:BYTE_0 src1_sel:DWORD
	v_lshrrev_b16_e32 v70, 12, v6
	v_mul_lo_u16_e32 v6, 30, v70
	v_sub_u16_e32 v72, v22, v6
	v_lshlrev_b32_sdwa v6, v20, v72 dst_sel:DWORD dst_unused:UNUSED_PAD src0_sel:DWORD src1_sel:BYTE_0
	global_load_dwordx2 v[10:11], v6, s[8:9] offset:80
	v_mul_lo_u16_sdwa v6, v23, s0 dst_sel:DWORD dst_unused:UNUSED_PAD src0_sel:BYTE_0 src1_sel:DWORD
	v_lshrrev_b16_e32 v74, 12, v6
	v_mul_lo_u16_e32 v6, 30, v74
	v_sub_u16_e32 v76, v23, v6
	s_mov_b32 s0, 0x8889
	v_lshlrev_b32_sdwa v6, v20, v76 dst_sel:DWORD dst_unused:UNUSED_PAD src0_sel:DWORD src1_sel:BYTE_0
	v_mul_u32_u24_sdwa v8, v37, s0 dst_sel:DWORD dst_unused:UNUSED_PAD src0_sel:WORD_0 src1_sel:DWORD
	global_load_dwordx2 v[6:7], v6, s[8:9] offset:80
	v_lshrrev_b32_e32 v73, 20, v8
	v_mul_lo_u16_e32 v8, 30, v73
	v_sub_u16_e32 v75, v37, v8
	v_lshlrev_b32_e32 v8, 3, v75
	global_load_dwordx2 v[8:9], v8, s[8:9] offset:80
	v_mul_u32_u24_sdwa v12, v34, s0 dst_sel:DWORD dst_unused:UNUSED_PAD src0_sel:WORD_0 src1_sel:DWORD
	v_lshrrev_b32_e32 v77, 20, v12
	v_mul_lo_u16_e32 v12, 30, v77
	v_sub_u16_e32 v78, v34, v12
	v_lshlrev_b32_e32 v12, 3, v78
	global_load_dwordx2 v[14:15], v12, s[8:9] offset:80
	v_mul_u32_u24_sdwa v13, v35, s0 dst_sel:DWORD dst_unused:UNUSED_PAD src0_sel:WORD_0 src1_sel:DWORD
	v_lshrrev_b32_e32 v84, 20, v13
	v_mul_lo_u16_e32 v13, 30, v84
	v_sub_u16_e32 v82, v35, v13
	v_mul_u32_u24_sdwa v13, v36, s0 dst_sel:DWORD dst_unused:UNUSED_PAD src0_sel:WORD_0 src1_sel:DWORD
	v_lshlrev_b32_e32 v12, 3, v82
	v_lshrrev_b32_e32 v80, 20, v13
	v_mul_lo_u16_e32 v13, 30, v80
	global_load_dwordx2 v[18:19], v12, s[8:9] offset:80
	v_sub_u16_e32 v81, v36, v13
	v_mul_u32_u24_sdwa v13, v38, s0 dst_sel:DWORD dst_unused:UNUSED_PAD src0_sel:WORD_0 src1_sel:DWORD
	v_lshrrev_b32_e32 v83, 20, v13
	v_mul_lo_u16_e32 v12, 30, v83
	v_lshlrev_b32_e32 v85, 3, v81
	v_sub_u16_e32 v79, v38, v12
	v_lshlrev_b32_e32 v86, 3, v79
	global_load_dwordx2 v[16:17], v85, s[8:9] offset:80
	global_load_dwordx2 v[12:13], v86, s[8:9] offset:80
	ds_read_u16 v85, v27 offset:1620
	ds_read_u16 v90, v27 offset:1782
	;; [unrolled: 1-line block ×5, first 2 shown]
	v_mul_u32_u24_sdwa v88, v40, s0 dst_sel:DWORD dst_unused:UNUSED_PAD src0_sel:WORD_0 src1_sel:DWORD
	v_lshrrev_b32_e32 v97, 20, v88
	v_mul_lo_u16_e32 v88, 30, v97
	v_sub_u16_e32 v98, v40, v88
	v_lshlrev_b32_e32 v88, 3, v98
	v_mul_u32_u24_e32 v67, 0xb4, v67
	s_waitcnt vmcnt(7) lgkmcnt(4)
	v_mul_f16_sdwa v86, v85, v0 dst_sel:DWORD dst_unused:UNUSED_PAD src0_sel:DWORD src1_sel:WORD_1
	v_fma_f16 v94, v68, v0, -v86
	v_mul_u32_u24_sdwa v86, v39, s0 dst_sel:DWORD dst_unused:UNUSED_PAD src0_sel:WORD_0 src1_sel:DWORD
	v_lshrrev_b32_e32 v95, 20, v86
	v_mul_lo_u16_e32 v86, 30, v95
	v_sub_u16_e32 v96, v39, v86
	v_mul_f16_sdwa v68, v68, v0 dst_sel:DWORD dst_unused:UNUSED_PAD src0_sel:DWORD src1_sel:WORD_1
	v_lshlrev_b32_e32 v86, 3, v96
	v_fma_f16 v0, v85, v0, v68
	ds_read_u16 v68, v27 offset:3240
	ds_read_u16 v85, v27 offset:3402
	global_load_dwordx2 v[86:87], v86, s[8:9] offset:80
	s_movk_i32 s0, 0xb4
	global_load_dwordx2 v[88:89], v88, s[8:9] offset:80
	s_waitcnt lgkmcnt(1)
	v_mul_f16_sdwa v105, v68, v1 dst_sel:DWORD dst_unused:UNUSED_PAD src0_sel:DWORD src1_sel:WORD_1
	v_fma_f16 v105, v71, v1, -v105
	v_mul_f16_sdwa v71, v71, v1 dst_sel:DWORD dst_unused:UNUSED_PAD src0_sel:DWORD src1_sel:WORD_1
	v_fma_f16 v1, v68, v1, v71
	s_waitcnt vmcnt(8)
	v_mul_f16_sdwa v68, v90, v10 dst_sel:DWORD dst_unused:UNUSED_PAD src0_sel:DWORD src1_sel:WORD_1
	v_fma_f16 v71, v63, v10, -v68
	v_mul_f16_sdwa v63, v63, v10 dst_sel:DWORD dst_unused:UNUSED_PAD src0_sel:DWORD src1_sel:WORD_1
	v_fma_f16 v10, v90, v10, v63
	s_waitcnt lgkmcnt(0)
	v_mul_f16_sdwa v63, v85, v11 dst_sel:DWORD dst_unused:UNUSED_PAD src0_sel:DWORD src1_sel:WORD_1
	v_fma_f16 v90, v66, v11, -v63
	v_mul_f16_sdwa v63, v66, v11 dst_sel:DWORD dst_unused:UNUSED_PAD src0_sel:DWORD src1_sel:WORD_1
	v_fma_f16 v11, v85, v11, v63
	s_waitcnt vmcnt(7)
	v_mul_f16_sdwa v63, v91, v6 dst_sel:DWORD dst_unused:UNUSED_PAD src0_sel:DWORD src1_sel:WORD_1
	v_fma_f16 v85, v61, v6, -v63
	v_mul_f16_sdwa v61, v61, v6 dst_sel:DWORD dst_unused:UNUSED_PAD src0_sel:DWORD src1_sel:WORD_1
	ds_read_u16 v99, v27 offset:2268
	ds_read_u16 v100, v27 offset:2430
	;; [unrolled: 1-line block ×6, first 2 shown]
	v_fma_f16 v6, v91, v6, v61
	ds_read_u16 v61, v27 offset:3564
	ds_read_u16 v63, v27 offset:3726
	;; [unrolled: 1-line block ×8, first 2 shown]
	s_waitcnt lgkmcnt(7)
	v_mul_f16_sdwa v109, v61, v7 dst_sel:DWORD dst_unused:UNUSED_PAD src0_sel:DWORD src1_sel:WORD_1
	v_fma_f16 v109, v65, v7, -v109
	v_mul_f16_sdwa v65, v65, v7 dst_sel:DWORD dst_unused:UNUSED_PAD src0_sel:DWORD src1_sel:WORD_1
	v_fma_f16 v7, v61, v7, v65
	s_waitcnt vmcnt(6)
	v_mul_f16_sdwa v61, v92, v8 dst_sel:DWORD dst_unused:UNUSED_PAD src0_sel:DWORD src1_sel:WORD_1
	v_fma_f16 v110, v58, v8, -v61
	v_mul_f16_sdwa v58, v58, v8 dst_sel:DWORD dst_unused:UNUSED_PAD src0_sel:DWORD src1_sel:WORD_1
	v_fma_f16 v8, v92, v8, v58
	s_waitcnt lgkmcnt(6)
	v_mul_f16_sdwa v58, v63, v9 dst_sel:DWORD dst_unused:UNUSED_PAD src0_sel:DWORD src1_sel:WORD_1
	v_fma_f16 v92, v64, v9, -v58
	v_mul_f16_sdwa v58, v64, v9 dst_sel:DWORD dst_unused:UNUSED_PAD src0_sel:DWORD src1_sel:WORD_1
	v_fma_f16 v9, v63, v9, v58
	s_waitcnt vmcnt(5)
	v_mul_f16_sdwa v58, v99, v14 dst_sel:DWORD dst_unused:UNUSED_PAD src0_sel:DWORD src1_sel:WORD_1
	v_fma_f16 v111, v56, v14, -v58
	v_mul_f16_sdwa v56, v56, v14 dst_sel:DWORD dst_unused:UNUSED_PAD src0_sel:DWORD src1_sel:WORD_1
	v_fma_f16 v14, v99, v14, v56
	;; [unrolled: 10-line block ×5, first 2 shown]
	s_waitcnt lgkmcnt(2)
	v_mul_f16_sdwa v51, v106, v13 dst_sel:DWORD dst_unused:UNUSED_PAD src0_sel:DWORD src1_sel:WORD_1
	v_fma_f16 v102, v57, v13, -v51
	v_mul_f16_sdwa v51, v57, v13 dst_sel:DWORD dst_unused:UNUSED_PAD src0_sel:DWORD src1_sel:WORD_1
	v_fma_f16 v13, v106, v13, v51
	v_sub_f16_e32 v53, v6, v7
	v_sub_f16_e32 v55, v8, v9
	;; [unrolled: 1-line block ×6, first 2 shown]
	s_waitcnt vmcnt(1)
	v_mul_f16_sdwa v51, v103, v86 dst_sel:DWORD dst_unused:UNUSED_PAD src0_sel:DWORD src1_sel:WORD_1
	v_fma_f16 v106, v49, v86, -v51
	v_mul_f16_sdwa v49, v49, v86 dst_sel:DWORD dst_unused:UNUSED_PAD src0_sel:DWORD src1_sel:WORD_1
	v_fma_f16 v86, v103, v86, v49
	s_waitcnt lgkmcnt(1)
	v_mul_f16_sdwa v49, v107, v87 dst_sel:DWORD dst_unused:UNUSED_PAD src0_sel:DWORD src1_sel:WORD_1
	v_fma_f16 v103, v54, v87, -v49
	v_mul_f16_sdwa v49, v54, v87 dst_sel:DWORD dst_unused:UNUSED_PAD src0_sel:DWORD src1_sel:WORD_1
	v_fma_f16 v87, v107, v87, v49
	s_waitcnt vmcnt(0)
	v_mul_f16_sdwa v49, v104, v88 dst_sel:DWORD dst_unused:UNUSED_PAD src0_sel:DWORD src1_sel:WORD_1
	v_fma_f16 v107, v50, v88, -v49
	v_mul_f16_sdwa v49, v50, v88 dst_sel:DWORD dst_unused:UNUSED_PAD src0_sel:DWORD src1_sel:WORD_1
	ds_read_u16 v51, v27
	v_fma_f16 v88, v104, v88, v49
	s_waitcnt lgkmcnt(1)
	v_mul_f16_sdwa v49, v108, v89 dst_sel:DWORD dst_unused:UNUSED_PAD src0_sel:DWORD src1_sel:WORD_1
	v_fma_f16 v104, v52, v89, -v49
	v_mul_f16_sdwa v49, v52, v89 dst_sel:DWORD dst_unused:UNUSED_PAD src0_sel:DWORD src1_sel:WORD_1
	v_fma_f16 v89, v108, v89, v49
	v_add_f16_e32 v49, v94, v105
	v_fma_f16 v49, v49, -0.5, v48
	v_sub_f16_e32 v50, v0, v1
	v_fma_f16 v52, v50, s4, v49
	v_fma_f16 v49, v50, s5, v49
	s_waitcnt lgkmcnt(0)
	v_add_f16_e32 v50, v51, v0
	v_add_f16_e32 v0, v0, v1
	;; [unrolled: 1-line block ×3, first 2 shown]
	v_fma_f16 v0, v0, -0.5, v51
	v_add_f16_e32 v1, v48, v94
	v_sub_f16_e32 v48, v94, v105
	v_fma_f16 v94, v48, s5, v0
	v_fma_f16 v0, v48, s4, v0
	v_add_f16_e32 v48, v71, v90
	v_fma_f16 v48, v48, -0.5, v47
	v_sub_f16_e32 v50, v10, v11
	v_fma_f16 v51, v50, s4, v48
	v_fma_f16 v48, v50, s5, v48
	v_add_f16_e32 v50, v85, v109
	v_fma_f16 v50, v50, -0.5, v44
	v_fma_f16 v54, v53, s4, v50
	v_fma_f16 v50, v53, s5, v50
	v_add_f16_e32 v53, v110, v92
	v_fma_f16 v53, v53, -0.5, v45
	;; [unrolled: 4-line block ×7, first 2 shown]
	v_sub_f16_e32 v65, v86, v87
	v_fma_f16 v66, v65, s4, v63
	v_fma_f16 v63, v65, s5, v63
	v_add_f16_e32 v65, v107, v104
	v_fma_f16 v65, v65, -0.5, v24
	v_sub_f16_e32 v68, v88, v89
	v_add_f16_e32 v1, v1, v105
	v_fma_f16 v105, v68, s4, v65
	v_fma_f16 v65, v68, s5, v65
	v_lshlrev_b32_sdwa v68, v21, v69 dst_sel:DWORD dst_unused:UNUSED_PAD src0_sel:DWORD src1_sel:BYTE_0
	v_add3_u32 v69, 0, v67, v68
	ds_read_u16 v108, v27 offset:162
	ds_read_u16 v114, v27 offset:324
	ds_read_u16 v116, v28
	ds_read_u16 v117, v29
	;; [unrolled: 1-line block ×6, first 2 shown]
	s_waitcnt lgkmcnt(0)
	s_barrier
	ds_write_b16 v69, v1
	ds_write_b16 v69, v52 offset:60
	ds_write_b16 v69, v49 offset:120
	v_lshlrev_b32_sdwa v1, v21, v72 dst_sel:DWORD dst_unused:UNUSED_PAD src0_sel:DWORD src1_sel:BYTE_0
	v_mul_u32_u24_e32 v49, 0xb4, v70
	v_add_f16_e32 v47, v47, v71
	v_add3_u32 v1, 0, v49, v1
	v_add_f16_e32 v47, v47, v90
	ds_write_b16 v1, v47
	ds_write_b16 v1, v51 offset:60
	ds_write_b16 v1, v48 offset:120
	v_lshlrev_b32_sdwa v47, v21, v76 dst_sel:DWORD dst_unused:UNUSED_PAD src0_sel:DWORD src1_sel:BYTE_0
	v_mul_u32_u24_e32 v48, 0xb4, v74
	v_add_f16_e32 v44, v44, v85
	v_add3_u32 v70, 0, v48, v47
	v_add_f16_e32 v44, v44, v109
	ds_write_b16 v70, v44
	ds_write_b16 v70, v54 offset:60
	ds_write_b16 v70, v50 offset:120
	v_lshlrev_b32_e32 v44, 1, v75
	v_mul_u32_u24_e32 v47, 0xb4, v73
	v_add3_u32 v72, 0, v47, v44
	v_add_f16_e32 v44, v45, v110
	v_add_f16_e32 v44, v44, v92
	ds_write_b16 v72, v44
	ds_write_b16 v72, v56 offset:60
	ds_write_b16 v72, v53 offset:120
	v_perm_b32 v44, v84, v77, s10
	v_pk_mul_lo_u16 v44, v44, s0 op_sel_hi:[1,0]
	v_lshlrev_b32_e32 v45, 1, v78
	v_and_b32_e32 v47, 0xfffc, v44
	v_add3_u32 v73, 0, v47, v45
	v_add_f16_e32 v45, v46, v111
	v_add_f16_e32 v45, v45, v99
	ds_write_b16 v73, v45
	ds_write_b16 v73, v58 offset:60
	ds_write_b16 v73, v55 offset:120
	v_lshlrev_b32_e32 v45, 1, v82
	v_lshrrev_b32_e32 v44, 16, v44
	v_add_f16_e32 v43, v43, v112
	v_add3_u32 v74, 0, v44, v45
	v_add_f16_e32 v43, v43, v100
	ds_write_b16 v74, v43
	ds_write_b16 v74, v60 offset:60
	ds_write_b16 v74, v57 offset:120
	v_perm_b32 v43, v83, v80, s10
	v_pk_mul_lo_u16 v43, v43, s0 op_sel_hi:[1,0]
	v_lshlrev_b32_e32 v44, 1, v81
	v_and_b32_e32 v45, 0xfffc, v43
	v_add_f16_e32 v42, v42, v113
	v_add3_u32 v75, 0, v45, v44
	v_add_f16_e32 v42, v42, v101
	ds_write_b16 v75, v42
	ds_write_b16 v75, v62 offset:60
	ds_write_b16 v75, v59 offset:120
	v_lshlrev_b32_e32 v42, 1, v79
	v_lshrrev_b32_e32 v43, 16, v43
	v_add_f16_e32 v41, v41, v91
	v_add3_u32 v76, 0, v43, v42
	v_add_f16_e32 v41, v41, v102
	ds_write_b16 v76, v41
	ds_write_b16 v76, v64 offset:60
	ds_write_b16 v76, v61 offset:120
	v_perm_b32 v41, v97, v95, s10
	v_pk_mul_lo_u16 v41, v41, s0 op_sel_hi:[1,0]
	v_lshlrev_b32_e32 v42, 1, v96
	v_and_b32_e32 v43, 0xfffc, v41
	v_add_f16_e32 v25, v25, v106
	v_add3_u32 v77, 0, v43, v42
	v_add_f16_e32 v25, v25, v103
	ds_write_b16 v77, v25
	ds_write_b16 v77, v66 offset:60
	ds_write_b16 v77, v63 offset:120
	v_lshlrev_b32_e32 v25, 1, v98
	v_lshrrev_b32_e32 v41, 16, v41
	v_add_f16_e32 v24, v24, v107
	v_add3_u32 v78, 0, v41, v25
	v_add_f16_e32 v24, v24, v104
	ds_write_b16 v78, v24
	ds_write_b16 v78, v105 offset:60
	ds_write_b16 v78, v65 offset:120
	s_waitcnt lgkmcnt(0)
	s_barrier
	ds_read_u16 v48, v27
	ds_read_u16 v47, v27 offset:162
	ds_read_u16 v45, v27 offset:324
	ds_read_u16 v61, v27 offset:1944
	ds_read_u16 v58, v27 offset:2106
	ds_read_u16 v63, v27 offset:1782
	ds_read_u16 v68, v27 offset:1620
	ds_read_u16 v43, v27 offset:486
	ds_read_u16 v56, v27 offset:2268
	ds_read_u16 v55, v27 offset:2430
	ds_read_u16 v53, v27 offset:2592
	ds_read_u16 v51, v27 offset:2754
	ds_read_u16 v49, v27 offset:2916
	ds_read_u16 v46, v28
	ds_read_u16 v44, v29
	;; [unrolled: 1-line block ×6, first 2 shown]
	ds_read_u16 v66, v27 offset:3402
	ds_read_u16 v67, v27 offset:3240
	;; [unrolled: 1-line block ×11, first 2 shown]
	s_waitcnt lgkmcnt(0)
	s_barrier
	ds_write_b16 v69, v115
	ds_write_b16 v69, v94 offset:60
	ds_write_b16 v69, v0 offset:120
	v_add_f16_e32 v0, v108, v10
	v_add_f16_e32 v10, v10, v11
	;; [unrolled: 1-line block ×3, first 2 shown]
	v_fma_f16 v10, v10, -0.5, v108
	v_sub_f16_e32 v11, v71, v90
	v_fma_f16 v69, v11, s5, v10
	v_fma_f16 v10, v11, s4, v10
	ds_write_b16 v1, v0
	ds_write_b16 v1, v69 offset:60
	ds_write_b16 v1, v10 offset:120
	v_add_f16_e32 v1, v6, v7
	v_add_f16_e32 v0, v114, v6
	v_fma_f16 v1, v1, -0.5, v114
	v_sub_f16_e32 v6, v85, v109
	v_add_f16_e32 v0, v0, v7
	v_fma_f16 v7, v6, s5, v1
	v_fma_f16 v1, v6, s4, v1
	ds_write_b16 v70, v0
	ds_write_b16 v70, v7 offset:60
	ds_write_b16 v70, v1 offset:120
	v_add_f16_e32 v1, v8, v9
	v_add_f16_e32 v0, v93, v8
	v_fma_f16 v1, v1, -0.5, v93
	v_sub_f16_e32 v6, v110, v92
	v_add_f16_e32 v0, v0, v9
	;; [unrolled: 10-line block ×5, first 2 shown]
	v_fma_f16 v7, v6, s5, v1
	v_fma_f16 v1, v6, s4, v1
	ds_write_b16 v75, v0
	ds_write_b16 v75, v7 offset:60
	ds_write_b16 v75, v1 offset:120
	v_add_f16_e32 v1, v12, v13
	v_add_f16_e32 v8, v86, v87
	;; [unrolled: 1-line block ×3, first 2 shown]
	v_fma_f16 v1, v1, -0.5, v119
	v_sub_f16_e32 v6, v91, v102
	v_fma_f16 v8, v8, -0.5, v120
	v_sub_f16_e32 v9, v106, v103
	v_add_f16_e32 v11, v88, v89
	v_add_f16_e32 v0, v0, v13
	v_fma_f16 v7, v6, s5, v1
	v_fma_f16 v1, v6, s4, v1
	v_add_f16_e32 v6, v120, v86
	v_fma_f16 v10, v9, s5, v8
	v_fma_f16 v8, v9, s4, v8
	v_add_f16_e32 v9, v121, v88
	v_fma_f16 v11, v11, -0.5, v121
	v_sub_f16_e32 v12, v107, v104
	v_add_f16_e32 v6, v6, v87
	v_add_f16_e32 v9, v9, v89
	v_fma_f16 v13, v12, s5, v11
	v_fma_f16 v11, v12, s4, v11
	ds_write_b16 v76, v0
	ds_write_b16 v76, v7 offset:60
	ds_write_b16 v76, v1 offset:120
	ds_write_b16 v77, v6
	ds_write_b16 v77, v10 offset:60
	ds_write_b16 v77, v8 offset:120
	;; [unrolled: 3-line block ×3, first 2 shown]
	v_lshlrev_b32_e32 v0, 1, v26
	v_mov_b32_e32 v1, 0
	v_lshl_add_u64 v[6:7], v[0:1], 2, s[8:9]
	s_waitcnt lgkmcnt(0)
	s_barrier
	global_load_dwordx2 v[16:17], v[6:7], off offset:320
	v_add_u32_e32 v8, -9, v26
	v_cmp_gt_u32_e64 s[0:1], 9, v26
	v_mov_b32_e32 v9, v1
	s_nop 0
	v_cndmask_b32_e64 v8, v8, v22, s[0:1]
	v_lshlrev_b32_e32 v8, 1, v8
	s_movk_i32 s0, 0xb7
	v_lshl_add_u64 v[10:11], v[8:9], 2, s[8:9]
	global_load_dwordx2 v[14:15], v[10:11], off offset:320
	v_mul_lo_u16_sdwa v9, v23, s0 dst_sel:DWORD dst_unused:UNUSED_PAD src0_sel:BYTE_0 src1_sel:DWORD
	s_movk_i32 s0, 0x2d83
	v_mul_u32_u24_sdwa v18, v34, s0 dst_sel:DWORD dst_unused:UNUSED_PAD src0_sel:WORD_0 src1_sel:DWORD
	v_lshrrev_b16_e32 v9, 14, v9
	v_lshrrev_b32_e32 v71, 20, v18
	v_mul_lo_u16_e32 v10, 0x5a, v9
	v_mul_lo_u16_e32 v18, 0x5a, v71
	v_sub_u16_e32 v74, v23, v10
	v_sub_u16_e32 v70, v34, v18
	v_lshlrev_b32_sdwa v10, v20, v74 dst_sel:DWORD dst_unused:UNUSED_PAD src0_sel:DWORD src1_sel:BYTE_0
	v_lshlrev_b32_e32 v18, 3, v70
	global_load_dwordx2 v[12:13], v10, s[8:9] offset:320
	v_mul_u32_u24_sdwa v72, v35, s0 dst_sel:DWORD dst_unused:UNUSED_PAD src0_sel:WORD_0 src1_sel:DWORD
	global_load_dwordx2 v[18:19], v18, s[8:9] offset:320
	v_mul_u32_u24_sdwa v10, v37, s0 dst_sel:DWORD dst_unused:UNUSED_PAD src0_sel:WORD_0 src1_sel:DWORD
	v_lshrrev_b32_e32 v20, 20, v10
	v_mul_lo_u16_e32 v10, 0x5a, v20
	v_sub_u16_e32 v69, v37, v10
	v_lshlrev_b32_e32 v10, 3, v69
	global_load_dwordx2 v[10:11], v10, s[8:9] offset:320
	ds_read_u16 v80, v27 offset:1620
	ds_read_u16 v86, v27 offset:1782
	;; [unrolled: 1-line block ×5, first 2 shown]
	v_lshrrev_b32_e32 v72, 20, v72
	v_mul_lo_u16_e32 v73, 0x5a, v72
	v_sub_u16_e32 v73, v35, v73
	v_lshlrev_b32_e32 v75, 3, v73
	global_load_dwordx2 v[76:77], v75, s[8:9] offset:320
	v_mul_u32_u24_sdwa v82, v39, s0 dst_sel:DWORD dst_unused:UNUSED_PAD src0_sel:WORD_0 src1_sel:DWORD
	v_lshrrev_b32_e32 v95, 20, v82
	v_mul_lo_u16_e32 v82, 0x5a, v95
	v_sub_u16_e32 v96, v39, v82
	v_lshlrev_b32_e32 v82, 3, v96
	v_mul_u32_u24_sdwa v84, v40, s0 dst_sel:DWORD dst_unused:UNUSED_PAD src0_sel:WORD_0 src1_sel:DWORD
	v_lshrrev_b32_e32 v84, 20, v84
	v_mul_lo_u16_e32 v84, 0x5a, v84
	v_sub_u16_e32 v97, v40, v84
	v_lshlrev_b32_e32 v84, 3, v97
	v_lshlrev_b32_sdwa v21, v21, v74 dst_sel:DWORD dst_unused:UNUSED_PAD src0_sel:DWORD src1_sel:BYTE_0
	v_mul_u32_u24_e32 v9, 0x21c, v9
	v_add3_u32 v9, 0, v9, v21
	v_mul_u32_u24_e32 v21, 0x21c, v72
	s_waitcnt vmcnt(5) lgkmcnt(4)
	v_mul_f16_sdwa v78, v80, v16 dst_sel:DWORD dst_unused:UNUSED_PAD src0_sel:DWORD src1_sel:WORD_1
	v_fma_f16 v91, v68, v16, -v78
	v_mul_f16_sdwa v68, v68, v16 dst_sel:DWORD dst_unused:UNUSED_PAD src0_sel:DWORD src1_sel:WORD_1
	v_fma_f16 v16, v80, v16, v68
	v_mul_u32_u24_sdwa v68, v38, s0 dst_sel:DWORD dst_unused:UNUSED_PAD src0_sel:WORD_0 src1_sel:DWORD
	v_lshrrev_b32_e32 v68, 20, v68
	v_mul_lo_u16_e32 v80, 0x5a, v68
	v_sub_u16_e32 v92, v38, v80
	v_lshlrev_b32_e32 v80, 3, v92
	global_load_dwordx2 v[80:81], v80, s[8:9] offset:320
	v_mul_u32_u24_sdwa v75, v36, s0 dst_sel:DWORD dst_unused:UNUSED_PAD src0_sel:WORD_0 src1_sel:DWORD
	v_lshrrev_b32_e32 v75, 20, v75
	v_mul_lo_u16_e32 v79, 0x5a, v75
	v_sub_u16_e32 v90, v36, v79
	v_lshlrev_b32_e32 v79, 3, v90
	global_load_dwordx2 v[78:79], v79, s[8:9] offset:320
	ds_read_u16 v93, v27 offset:3240
	ds_read_u16 v94, v27 offset:3402
	global_load_dwordx2 v[82:83], v82, s[8:9] offset:320
	v_cmp_lt_u32_e64 s[0:1], 8, v26
	global_load_dwordx2 v[84:85], v84, s[8:9] offset:320
	s_waitcnt lgkmcnt(1)
	v_mul_f16_sdwa v104, v93, v17 dst_sel:DWORD dst_unused:UNUSED_PAD src0_sel:DWORD src1_sel:WORD_1
	v_fma_f16 v104, v67, v17, -v104
	v_mul_f16_sdwa v67, v67, v17 dst_sel:DWORD dst_unused:UNUSED_PAD src0_sel:DWORD src1_sel:WORD_1
	v_fma_f16 v17, v93, v17, v67
	s_waitcnt vmcnt(8)
	v_mul_f16_sdwa v67, v86, v14 dst_sel:DWORD dst_unused:UNUSED_PAD src0_sel:DWORD src1_sel:WORD_1
	v_fma_f16 v67, v63, v14, -v67
	v_mul_f16_sdwa v63, v63, v14 dst_sel:DWORD dst_unused:UNUSED_PAD src0_sel:DWORD src1_sel:WORD_1
	v_fma_f16 v14, v86, v14, v63
	s_waitcnt lgkmcnt(0)
	v_mul_f16_sdwa v63, v94, v15 dst_sel:DWORD dst_unused:UNUSED_PAD src0_sel:DWORD src1_sel:WORD_1
	v_fma_f16 v63, v66, v15, -v63
	v_mul_f16_sdwa v66, v66, v15 dst_sel:DWORD dst_unused:UNUSED_PAD src0_sel:DWORD src1_sel:WORD_1
	v_fma_f16 v15, v94, v15, v66
	s_waitcnt vmcnt(7)
	v_mul_f16_sdwa v66, v87, v12 dst_sel:DWORD dst_unused:UNUSED_PAD src0_sel:DWORD src1_sel:WORD_1
	v_fma_f16 v86, v61, v12, -v66
	v_mul_f16_sdwa v61, v61, v12 dst_sel:DWORD dst_unused:UNUSED_PAD src0_sel:DWORD src1_sel:WORD_1
	ds_read_u16 v98, v27 offset:2268
	ds_read_u16 v99, v27 offset:2430
	;; [unrolled: 1-line block ×6, first 2 shown]
	v_fma_f16 v12, v87, v12, v61
	ds_read_u16 v61, v27 offset:3564
	ds_read_u16 v66, v27 offset:3726
	;; [unrolled: 1-line block ×8, first 2 shown]
	s_waitcnt lgkmcnt(7)
	v_mul_f16_sdwa v108, v61, v13 dst_sel:DWORD dst_unused:UNUSED_PAD src0_sel:DWORD src1_sel:WORD_1
	v_fma_f16 v108, v65, v13, -v108
	v_mul_f16_sdwa v65, v65, v13 dst_sel:DWORD dst_unused:UNUSED_PAD src0_sel:DWORD src1_sel:WORD_1
	v_fma_f16 v13, v61, v13, v65
	s_waitcnt vmcnt(5)
	v_mul_f16_sdwa v61, v88, v10 dst_sel:DWORD dst_unused:UNUSED_PAD src0_sel:DWORD src1_sel:WORD_1
	v_fma_f16 v109, v58, v10, -v61
	v_mul_f16_sdwa v58, v58, v10 dst_sel:DWORD dst_unused:UNUSED_PAD src0_sel:DWORD src1_sel:WORD_1
	v_fma_f16 v10, v88, v10, v58
	s_waitcnt lgkmcnt(6)
	v_mul_f16_sdwa v58, v66, v11 dst_sel:DWORD dst_unused:UNUSED_PAD src0_sel:DWORD src1_sel:WORD_1
	v_fma_f16 v88, v64, v11, -v58
	v_mul_f16_sdwa v58, v64, v11 dst_sel:DWORD dst_unused:UNUSED_PAD src0_sel:DWORD src1_sel:WORD_1
	v_fma_f16 v11, v66, v11, v58
	v_mul_f16_sdwa v58, v98, v18 dst_sel:DWORD dst_unused:UNUSED_PAD src0_sel:DWORD src1_sel:WORD_1
	v_fma_f16 v110, v56, v18, -v58
	v_mul_f16_sdwa v56, v56, v18 dst_sel:DWORD dst_unused:UNUSED_PAD src0_sel:DWORD src1_sel:WORD_1
	v_fma_f16 v18, v98, v18, v56
	s_waitcnt lgkmcnt(5)
	v_mul_f16_sdwa v56, v87, v19 dst_sel:DWORD dst_unused:UNUSED_PAD src0_sel:DWORD src1_sel:WORD_1
	v_fma_f16 v98, v62, v19, -v56
	v_mul_f16_sdwa v56, v62, v19 dst_sel:DWORD dst_unused:UNUSED_PAD src0_sel:DWORD src1_sel:WORD_1
	v_fma_f16 v19, v87, v19, v56
	s_waitcnt vmcnt(4)
	v_mul_f16_sdwa v56, v99, v76 dst_sel:DWORD dst_unused:UNUSED_PAD src0_sel:DWORD src1_sel:WORD_1
	v_fma_f16 v87, v55, v76, -v56
	v_mul_f16_sdwa v55, v55, v76 dst_sel:DWORD dst_unused:UNUSED_PAD src0_sel:DWORD src1_sel:WORD_1
	v_fma_f16 v76, v99, v76, v55
	s_waitcnt lgkmcnt(4)
	v_mul_f16_sdwa v55, v93, v77 dst_sel:DWORD dst_unused:UNUSED_PAD src0_sel:DWORD src1_sel:WORD_1
	v_fma_f16 v99, v60, v77, -v55
	v_mul_f16_sdwa v55, v60, v77 dst_sel:DWORD dst_unused:UNUSED_PAD src0_sel:DWORD src1_sel:WORD_1
	v_fma_f16 v77, v93, v77, v55
	v_sub_f16_e32 v56, v18, v19
	v_sub_f16_e32 v58, v76, v77
	s_waitcnt vmcnt(2)
	v_mul_f16_sdwa v55, v100, v78 dst_sel:DWORD dst_unused:UNUSED_PAD src0_sel:DWORD src1_sel:WORD_1
	v_fma_f16 v93, v53, v78, -v55
	v_mul_f16_sdwa v53, v53, v78 dst_sel:DWORD dst_unused:UNUSED_PAD src0_sel:DWORD src1_sel:WORD_1
	v_fma_f16 v78, v100, v78, v53
	s_waitcnt lgkmcnt(3)
	v_mul_f16_sdwa v53, v94, v79 dst_sel:DWORD dst_unused:UNUSED_PAD src0_sel:DWORD src1_sel:WORD_1
	v_fma_f16 v100, v59, v79, -v53
	v_mul_f16_sdwa v53, v59, v79 dst_sel:DWORD dst_unused:UNUSED_PAD src0_sel:DWORD src1_sel:WORD_1
	v_fma_f16 v79, v94, v79, v53
	v_mul_f16_sdwa v53, v101, v80 dst_sel:DWORD dst_unused:UNUSED_PAD src0_sel:DWORD src1_sel:WORD_1
	v_fma_f16 v94, v51, v80, -v53
	v_mul_f16_sdwa v51, v51, v80 dst_sel:DWORD dst_unused:UNUSED_PAD src0_sel:DWORD src1_sel:WORD_1
	v_fma_f16 v80, v101, v80, v51
	s_waitcnt lgkmcnt(2)
	v_mul_f16_sdwa v51, v105, v81 dst_sel:DWORD dst_unused:UNUSED_PAD src0_sel:DWORD src1_sel:WORD_1
	v_fma_f16 v101, v57, v81, -v51
	v_mul_f16_sdwa v51, v57, v81 dst_sel:DWORD dst_unused:UNUSED_PAD src0_sel:DWORD src1_sel:WORD_1
	v_fma_f16 v81, v105, v81, v51
	s_waitcnt vmcnt(1)
	v_mul_f16_sdwa v51, v102, v82 dst_sel:DWORD dst_unused:UNUSED_PAD src0_sel:DWORD src1_sel:WORD_1
	v_fma_f16 v105, v49, v82, -v51
	v_mul_f16_sdwa v49, v49, v82 dst_sel:DWORD dst_unused:UNUSED_PAD src0_sel:DWORD src1_sel:WORD_1
	v_fma_f16 v82, v102, v82, v49
	s_waitcnt lgkmcnt(1)
	v_mul_f16_sdwa v49, v106, v83 dst_sel:DWORD dst_unused:UNUSED_PAD src0_sel:DWORD src1_sel:WORD_1
	v_fma_f16 v102, v54, v83, -v49
	v_mul_f16_sdwa v49, v54, v83 dst_sel:DWORD dst_unused:UNUSED_PAD src0_sel:DWORD src1_sel:WORD_1
	v_fma_f16 v83, v106, v83, v49
	s_waitcnt vmcnt(0)
	v_mul_f16_sdwa v49, v103, v84 dst_sel:DWORD dst_unused:UNUSED_PAD src0_sel:DWORD src1_sel:WORD_1
	v_fma_f16 v106, v50, v84, -v49
	v_mul_f16_sdwa v49, v50, v84 dst_sel:DWORD dst_unused:UNUSED_PAD src0_sel:DWORD src1_sel:WORD_1
	v_fma_f16 v84, v103, v84, v49
	s_waitcnt lgkmcnt(0)
	v_mul_f16_sdwa v49, v107, v85 dst_sel:DWORD dst_unused:UNUSED_PAD src0_sel:DWORD src1_sel:WORD_1
	v_fma_f16 v103, v52, v85, -v49
	v_mul_f16_sdwa v49, v52, v85 dst_sel:DWORD dst_unused:UNUSED_PAD src0_sel:DWORD src1_sel:WORD_1
	ds_read_u16 v51, v27
	v_fma_f16 v85, v107, v85, v49
	v_mov_b32_e32 v49, 0x21c
	v_cndmask_b32_e64 v49, 0, v49, s[0:1]
	v_add3_u32 v8, 0, v49, v8
	v_add_f16_e32 v49, v91, v104
	v_fma_f16 v49, v49, -0.5, v48
	v_sub_f16_e32 v50, v16, v17
	v_fma_f16 v52, v50, s4, v49
	v_fma_f16 v49, v50, s5, v49
	ds_read_u16 v50, v27 offset:162
	ds_read_u16 v74, v27 offset:324
	s_waitcnt lgkmcnt(2)
	v_add_f16_e32 v53, v51, v16
	v_add_f16_e32 v16, v16, v17
	v_add_f16_e32 v107, v53, v17
	v_fma_f16 v16, v16, -0.5, v51
	v_add_f16_e32 v17, v48, v91
	v_sub_f16_e32 v48, v91, v104
	v_fma_f16 v91, v48, s5, v16
	v_fma_f16 v16, v48, s4, v16
	v_add_f16_e32 v48, v67, v63
	v_fma_f16 v48, v48, -0.5, v47
	v_sub_f16_e32 v51, v14, v15
	v_fma_f16 v53, v51, s4, v48
	v_fma_f16 v48, v51, s5, v48
	s_waitcnt lgkmcnt(1)
	v_add_f16_e32 v51, v50, v14
	v_add_f16_e32 v17, v17, v104
	;; [unrolled: 1-line block ×5, first 2 shown]
	v_fma_f16 v14, v14, -0.5, v50
	v_add_f16_e32 v15, v15, v63
	v_sub_f16_e32 v47, v67, v63
	v_fma_f16 v111, v47, s5, v14
	v_fma_f16 v14, v47, s4, v14
	v_add_f16_e32 v47, v86, v108
	ds_read_u16 v112, v28
	ds_read_u16 v113, v29
	ds_read_u16 v114, v30
	ds_read_u16 v115, v31
	ds_read_u16 v116, v32
	ds_read_u16 v117, v33
	s_waitcnt lgkmcnt(0)
	s_barrier
	ds_write_b16 v27, v17
	ds_write_b16 v27, v52 offset:180
	ds_write_b16 v27, v49 offset:360
	ds_write_b16 v8, v15
	ds_write_b16 v8, v53 offset:180
	ds_write_b16 v8, v48 offset:360
	v_add_f16_e32 v15, v45, v86
	v_fma_f16 v47, v47, -0.5, v45
	v_sub_f16_e32 v50, v12, v13
	v_add_f16_e32 v15, v15, v108
	v_fma_f16 v51, v50, s4, v47
	v_fma_f16 v47, v50, s5, v47
	ds_write_b16 v9, v15
	ds_write_b16 v9, v51 offset:180
	ds_write_b16 v9, v47 offset:360
	v_perm_b32 v15, v71, v20, s10
	s_movk_i32 s0, 0x21c
	v_pk_mul_lo_u16 v15, v15, s0 op_sel_hi:[1,0]
	v_lshlrev_b32_e32 v17, 1, v69
	v_and_b32_e32 v20, 0xfffc, v15
	v_add_f16_e32 v50, v109, v88
	v_add3_u32 v17, 0, v20, v17
	v_add_f16_e32 v20, v43, v109
	v_fma_f16 v50, v50, -0.5, v43
	v_sub_f16_e32 v54, v10, v11
	v_add_f16_e32 v20, v20, v88
	v_fma_f16 v55, v54, s4, v50
	v_fma_f16 v50, v54, s5, v50
	v_add_f16_e32 v54, v110, v98
	ds_write_b16 v17, v20
	ds_write_b16 v17, v55 offset:180
	ds_write_b16 v17, v50 offset:360
	v_lshlrev_b32_e32 v20, 1, v70
	v_lshrrev_b32_e32 v15, 16, v15
	v_fma_f16 v54, v54, -0.5, v46
	v_add3_u32 v15, 0, v15, v20
	v_add_f16_e32 v20, v46, v110
	v_fma_f16 v57, v56, s4, v54
	v_fma_f16 v54, v56, s5, v54
	v_add_f16_e32 v56, v87, v99
	v_add_f16_e32 v20, v20, v98
	v_fma_f16 v56, v56, -0.5, v44
	ds_write_b16 v15, v20
	ds_write_b16 v15, v57 offset:180
	ds_write_b16 v15, v54 offset:360
	v_lshlrev_b32_e32 v20, 1, v73
	v_fma_f16 v59, v58, s4, v56
	v_fma_f16 v56, v58, s5, v56
	v_add_f16_e32 v58, v93, v100
	v_add3_u32 v20, 0, v21, v20
	v_add_f16_e32 v21, v44, v87
	v_fma_f16 v58, v58, -0.5, v42
	v_sub_f16_e32 v60, v78, v79
	v_add_f16_e32 v21, v21, v99
	v_fma_f16 v61, v60, s4, v58
	v_fma_f16 v58, v60, s5, v58
	v_add_f16_e32 v60, v94, v101
	ds_write_b16 v20, v21
	ds_write_b16 v20, v59 offset:180
	ds_write_b16 v20, v56 offset:360
	v_lshlrev_b32_e32 v21, 1, v90
	v_mul_u32_u24_e32 v43, 0x21c, v75
	v_add_f16_e32 v42, v42, v93
	v_fma_f16 v60, v60, -0.5, v41
	v_sub_f16_e32 v62, v80, v81
	v_add3_u32 v21, 0, v43, v21
	v_add_f16_e32 v42, v42, v100
	v_fma_f16 v63, v62, s4, v60
	v_fma_f16 v60, v62, s5, v60
	v_add_f16_e32 v62, v105, v102
	ds_write_b16 v21, v42
	ds_write_b16 v21, v61 offset:180
	ds_write_b16 v21, v58 offset:360
	v_lshlrev_b32_e32 v42, 1, v92
	v_mul_u32_u24_e32 v43, 0x21c, v68
	v_add_f16_e32 v41, v41, v94
	v_fma_f16 v62, v62, -0.5, v25
	v_sub_f16_e32 v64, v82, v83
	v_add3_u32 v71, 0, v43, v42
	;; [unrolled: 13-line block ×3, first 2 shown]
	v_add_f16_e32 v25, v25, v102
	v_add_f16_e32 v24, v24, v106
	v_fma_f16 v67, v66, s4, v64
	v_fma_f16 v64, v66, s5, v64
	ds_write_b16 v72, v25
	ds_write_b16 v72, v65 offset:180
	ds_write_b16 v72, v62 offset:360
	v_add_f16_e32 v24, v24, v103
	v_lshl_add_u32 v25, v97, 1, 0
	ds_write_b16 v25, v24 offset:4320
	ds_write_b16 v25, v67 offset:4500
	;; [unrolled: 1-line block ×3, first 2 shown]
	s_waitcnt lgkmcnt(0)
	s_barrier
	ds_read_u16 v50, v27
	ds_read_u16 v49, v27 offset:162
	ds_read_u16 v48, v27 offset:324
	;; [unrolled: 1-line block ×12, first 2 shown]
	ds_read_u16 v46, v28
	ds_read_u16 v45, v29
	;; [unrolled: 1-line block ×6, first 2 shown]
	ds_read_u16 v68, v27 offset:3402
	ds_read_u16 v70, v27 offset:3240
	;; [unrolled: 1-line block ×11, first 2 shown]
	s_waitcnt lgkmcnt(0)
	s_barrier
	ds_write_b16 v27, v107
	ds_write_b16 v27, v91 offset:180
	ds_write_b16 v27, v16 offset:360
	ds_write_b16 v8, v104
	ds_write_b16 v8, v111 offset:180
	ds_write_b16 v8, v14 offset:360
	v_add_f16_e32 v8, v74, v12
	v_add_f16_e32 v12, v12, v13
	;; [unrolled: 1-line block ×3, first 2 shown]
	v_fma_f16 v12, v12, -0.5, v74
	v_sub_f16_e32 v13, v86, v108
	v_fma_f16 v14, v13, s5, v12
	v_fma_f16 v12, v13, s4, v12
	ds_write_b16 v9, v8
	ds_write_b16 v9, v14 offset:180
	ds_write_b16 v9, v12 offset:360
	v_add_f16_e32 v9, v10, v11
	v_add_f16_e32 v8, v89, v10
	v_fma_f16 v9, v9, -0.5, v89
	v_sub_f16_e32 v10, v109, v88
	v_add_f16_e32 v8, v8, v11
	v_fma_f16 v11, v10, s5, v9
	v_fma_f16 v9, v10, s4, v9
	ds_write_b16 v17, v8
	ds_write_b16 v17, v11 offset:180
	ds_write_b16 v17, v9 offset:360
	v_add_f16_e32 v9, v18, v19
	v_add_f16_e32 v8, v112, v18
	v_fma_f16 v9, v9, -0.5, v112
	v_sub_f16_e32 v10, v110, v98
	v_add_f16_e32 v8, v8, v19
	;; [unrolled: 10-line block ×6, first 2 shown]
	v_add_f16_e32 v8, v8, v83
	v_fma_f16 v11, v10, s5, v9
	v_fma_f16 v9, v10, s4, v9
	v_add_f16_e32 v10, v117, v84
	v_fma_f16 v12, v12, -0.5, v117
	v_sub_f16_e32 v13, v106, v103
	v_add_f16_e32 v10, v10, v85
	v_fma_f16 v14, v13, s5, v12
	v_fma_f16 v12, v13, s4, v12
	ds_write_b16 v72, v8
	ds_write_b16 v72, v11 offset:180
	ds_write_b16 v72, v9 offset:360
	;; [unrolled: 1-line block ×5, first 2 shown]
	s_waitcnt lgkmcnt(0)
	s_barrier
	global_load_dwordx2 v[20:21], v[6:7], off offset:1040
	v_lshlrev_b32_e32 v8, 1, v22
	v_mov_b32_e32 v9, v1
	v_lshl_add_u64 v[8:9], v[8:9], 2, s[8:9]
	global_load_dwordx2 v[18:19], v[8:9], off offset:1040
	v_lshlrev_b32_e32 v10, 1, v23
	v_mov_b32_e32 v11, v1
	v_lshl_add_u64 v[10:11], v[10:11], 2, s[8:9]
	global_load_dwordx2 v[16:17], v[10:11], off offset:1040
	v_subrev_u32_e32 v12, 27, v26
	v_cmp_gt_u32_e64 s[0:1], 27, v26
	v_mov_b32_e32 v13, v1
	v_add_u32_e32 v22, 0x6c, v0
	v_cndmask_b32_e64 v12, v12, v37, s[0:1]
	v_lshlrev_b32_e32 v12, 1, v12
	v_lshl_add_u64 v[14:15], v[12:13], 2, s[8:9]
	global_load_dwordx2 v[14:15], v[14:15], off offset:1040
	v_mov_b32_e32 v23, v1
	v_lshl_add_u64 v[72:73], v[22:23], 2, s[8:9]
	v_add_u32_e32 v22, 0x10e, v0
	v_lshl_add_u64 v[74:75], v[22:23], 2, s[8:9]
	global_load_dwordx2 v[22:23], v[72:73], off offset:1040
	global_load_dwordx2 v[24:25], v[74:75], off offset:1040
	ds_read_u16 v80, v27 offset:1944
	ds_read_u16 v81, v27 offset:2106
	;; [unrolled: 1-line block ×4, first 2 shown]
	s_movk_i32 s0, 0x795d
	v_mul_u32_u24_sdwa v13, v36, s0 dst_sel:DWORD dst_unused:UNUSED_PAD src0_sel:WORD_0 src1_sel:DWORD
	v_lshrrev_b32_e32 v13, 23, v13
	v_mul_lo_u16_e32 v71, 0x10e, v13
	v_sub_u16_e32 v71, v36, v71
	v_lshlrev_b32_e32 v72, 3, v71
	v_mul_u32_u24_sdwa v74, v38, s0 dst_sel:DWORD dst_unused:UNUSED_PAD src0_sel:WORD_0 src1_sel:DWORD
	ds_read_u16 v83, v27
	ds_read_u16 v84, v27 offset:162
	ds_read_u16 v85, v27 offset:324
	;; [unrolled: 1-line block ×3, first 2 shown]
	v_lshrrev_b32_e32 v74, 23, v74
	v_mul_lo_u16_e32 v74, 0x10e, v74
	ds_read_u16 v89, v27 offset:3240
	v_sub_u16_e32 v88, v38, v74
	v_lshlrev_b32_e32 v74, 3, v88
	global_load_dwordx2 v[74:75], v74, s[8:9] offset:1040
	v_add_u32_e32 v0, 0, v0
	v_mul_u32_u24_e32 v13, 0x654, v13
	s_waitcnt vmcnt(6) lgkmcnt(5)
	v_mul_f16_sdwa v73, v76, v20 dst_sel:DWORD dst_unused:UNUSED_PAD src0_sel:DWORD src1_sel:WORD_1
	v_fma_f16 v87, v69, v20, -v73
	global_load_dwordx2 v[72:73], v72, s[8:9] offset:1040
	v_mul_f16_sdwa v69, v69, v20 dst_sel:DWORD dst_unused:UNUSED_PAD src0_sel:DWORD src1_sel:WORD_1
	v_fma_f16 v20, v76, v20, v69
	v_mul_u32_u24_sdwa v69, v39, s0 dst_sel:DWORD dst_unused:UNUSED_PAD src0_sel:WORD_0 src1_sel:DWORD
	v_lshrrev_b32_e32 v69, 23, v69
	v_mul_lo_u16_e32 v69, 0x10e, v69
	v_sub_u16_e32 v69, v39, v69
	s_waitcnt lgkmcnt(0)
	v_mul_f16_sdwa v78, v89, v21 dst_sel:DWORD dst_unused:UNUSED_PAD src0_sel:DWORD src1_sel:WORD_1
	v_lshlrev_b32_e32 v76, 3, v69
	v_fma_f16 v92, v70, v21, -v78
	v_mul_u32_u24_sdwa v78, v40, s0 dst_sel:DWORD dst_unused:UNUSED_PAD src0_sel:WORD_0 src1_sel:DWORD
	ds_read_u16 v90, v27 offset:3402
	ds_read_u16 v91, v27 offset:3078
	global_load_dwordx2 v[76:77], v76, s[8:9] offset:1040
	v_lshrrev_b32_e32 v78, 23, v78
	v_mul_lo_u16_e32 v78, 0x10e, v78
	v_sub_u16_e32 v93, v40, v78
	v_lshlrev_b32_e32 v78, 3, v93
	global_load_dwordx2 v[78:79], v78, s[8:9] offset:1040
	v_mul_f16_sdwa v70, v70, v21 dst_sel:DWORD dst_unused:UNUSED_PAD src0_sel:DWORD src1_sel:WORD_1
	v_fma_f16 v21, v89, v21, v70
	s_waitcnt vmcnt(8)
	v_mul_f16_sdwa v70, v82, v18 dst_sel:DWORD dst_unused:UNUSED_PAD src0_sel:DWORD src1_sel:WORD_1
	v_fma_f16 v70, v65, v18, -v70
	v_mul_f16_sdwa v65, v65, v18 dst_sel:DWORD dst_unused:UNUSED_PAD src0_sel:DWORD src1_sel:WORD_1
	v_fma_f16 v18, v82, v18, v65
	s_waitcnt lgkmcnt(1)
	v_mul_f16_sdwa v65, v90, v19 dst_sel:DWORD dst_unused:UNUSED_PAD src0_sel:DWORD src1_sel:WORD_1
	v_fma_f16 v65, v68, v19, -v65
	v_mul_f16_sdwa v68, v68, v19 dst_sel:DWORD dst_unused:UNUSED_PAD src0_sel:DWORD src1_sel:WORD_1
	v_fma_f16 v19, v90, v19, v68
	s_waitcnt vmcnt(7)
	v_mul_f16_sdwa v68, v80, v16 dst_sel:DWORD dst_unused:UNUSED_PAD src0_sel:DWORD src1_sel:WORD_1
	v_fma_f16 v68, v63, v16, -v68
	v_mul_f16_sdwa v63, v63, v16 dst_sel:DWORD dst_unused:UNUSED_PAD src0_sel:DWORD src1_sel:WORD_1
	v_fma_f16 v16, v80, v16, v63
	ds_read_u16 v63, v27 offset:3564
	ds_read_u16 v80, v27 offset:3726
	ds_read_u16 v82, v27 offset:3888
	ds_read_u16 v89, v27 offset:4050
	ds_read_u16 v90, v27 offset:4212
	ds_read_u16 v94, v27 offset:4374
	ds_read_u16 v95, v27 offset:4536
	ds_read_u16 v96, v27 offset:4698
	s_waitcnt lgkmcnt(7)
	v_mul_f16_sdwa v97, v63, v17 dst_sel:DWORD dst_unused:UNUSED_PAD src0_sel:DWORD src1_sel:WORD_1
	v_fma_f16 v97, v67, v17, -v97
	v_mul_f16_sdwa v67, v67, v17 dst_sel:DWORD dst_unused:UNUSED_PAD src0_sel:DWORD src1_sel:WORD_1
	v_fma_f16 v17, v63, v17, v67
	s_waitcnt vmcnt(6)
	v_mul_f16_sdwa v63, v81, v14 dst_sel:DWORD dst_unused:UNUSED_PAD src0_sel:DWORD src1_sel:WORD_1
	v_fma_f16 v63, v60, v14, -v63
	v_mul_f16_sdwa v60, v60, v14 dst_sel:DWORD dst_unused:UNUSED_PAD src0_sel:DWORD src1_sel:WORD_1
	v_fma_f16 v14, v81, v14, v60
	s_waitcnt lgkmcnt(6)
	v_mul_f16_sdwa v60, v80, v15 dst_sel:DWORD dst_unused:UNUSED_PAD src0_sel:DWORD src1_sel:WORD_1
	v_fma_f16 v60, v66, v15, -v60
	v_mul_f16_sdwa v66, v66, v15 dst_sel:DWORD dst_unused:UNUSED_PAD src0_sel:DWORD src1_sel:WORD_1
	v_fma_f16 v15, v80, v15, v66
	ds_read_u16 v66, v27 offset:2268
	ds_read_u16 v67, v27 offset:2430
	;; [unrolled: 1-line block ×5, first 2 shown]
	s_waitcnt vmcnt(5) lgkmcnt(4)
	v_mul_f16_sdwa v99, v66, v22 dst_sel:DWORD dst_unused:UNUSED_PAD src0_sel:DWORD src1_sel:WORD_1
	v_fma_f16 v99, v58, v22, -v99
	v_mul_f16_sdwa v58, v58, v22 dst_sel:DWORD dst_unused:UNUSED_PAD src0_sel:DWORD src1_sel:WORD_1
	v_fma_f16 v66, v66, v22, v58
	v_mul_f16_sdwa v22, v82, v23 dst_sel:DWORD dst_unused:UNUSED_PAD src0_sel:DWORD src1_sel:WORD_1
	v_fma_f16 v100, v64, v23, -v22
	v_mul_f16_sdwa v22, v64, v23 dst_sel:DWORD dst_unused:UNUSED_PAD src0_sel:DWORD src1_sel:WORD_1
	v_fma_f16 v64, v82, v23, v22
	s_waitcnt vmcnt(4) lgkmcnt(3)
	v_mul_f16_sdwa v22, v67, v24 dst_sel:DWORD dst_unused:UNUSED_PAD src0_sel:DWORD src1_sel:WORD_1
	v_fma_f16 v82, v57, v24, -v22
	v_mul_f16_sdwa v22, v57, v24 dst_sel:DWORD dst_unused:UNUSED_PAD src0_sel:DWORD src1_sel:WORD_1
	v_fma_f16 v67, v67, v24, v22
	v_mul_f16_sdwa v22, v89, v25 dst_sel:DWORD dst_unused:UNUSED_PAD src0_sel:DWORD src1_sel:WORD_1
	v_fma_f16 v101, v62, v25, -v22
	v_mul_f16_sdwa v22, v62, v25 dst_sel:DWORD dst_unused:UNUSED_PAD src0_sel:DWORD src1_sel:WORD_1
	v_fma_f16 v89, v89, v25, v22
	v_cmp_lt_u32_e64 s[0:1], 26, v26
	v_sub_f16_e32 v23, v20, v21
	v_lshl_add_u32 v69, v69, 1, 0
	s_waitcnt vmcnt(2) lgkmcnt(2)
	v_mul_f16_sdwa v22, v80, v72 dst_sel:DWORD dst_unused:UNUSED_PAD src0_sel:DWORD src1_sel:WORD_1
	v_fma_f16 v102, v55, v72, -v22
	v_mul_f16_sdwa v22, v55, v72 dst_sel:DWORD dst_unused:UNUSED_PAD src0_sel:DWORD src1_sel:WORD_1
	v_fma_f16 v72, v80, v72, v22
	v_mul_f16_sdwa v22, v90, v73 dst_sel:DWORD dst_unused:UNUSED_PAD src0_sel:DWORD src1_sel:WORD_1
	v_fma_f16 v80, v61, v73, -v22
	v_mul_f16_sdwa v22, v61, v73 dst_sel:DWORD dst_unused:UNUSED_PAD src0_sel:DWORD src1_sel:WORD_1
	v_fma_f16 v73, v90, v73, v22
	s_waitcnt lgkmcnt(1)
	v_mul_f16_sdwa v22, v81, v74 dst_sel:DWORD dst_unused:UNUSED_PAD src0_sel:DWORD src1_sel:WORD_1
	v_fma_f16 v90, v53, v74, -v22
	v_mul_f16_sdwa v22, v53, v74 dst_sel:DWORD dst_unused:UNUSED_PAD src0_sel:DWORD src1_sel:WORD_1
	v_fma_f16 v74, v81, v74, v22
	v_mul_f16_sdwa v22, v94, v75 dst_sel:DWORD dst_unused:UNUSED_PAD src0_sel:DWORD src1_sel:WORD_1
	v_fma_f16 v81, v59, v75, -v22
	v_mul_f16_sdwa v22, v59, v75 dst_sel:DWORD dst_unused:UNUSED_PAD src0_sel:DWORD src1_sel:WORD_1
	v_fma_f16 v75, v94, v75, v22
	s_waitcnt vmcnt(1) lgkmcnt(0)
	v_mul_f16_sdwa v22, v98, v76 dst_sel:DWORD dst_unused:UNUSED_PAD src0_sel:DWORD src1_sel:WORD_1
	v_fma_f16 v94, v51, v76, -v22
	v_mul_f16_sdwa v22, v51, v76 dst_sel:DWORD dst_unused:UNUSED_PAD src0_sel:DWORD src1_sel:WORD_1
	v_fma_f16 v76, v98, v76, v22
	v_mul_f16_sdwa v22, v95, v77 dst_sel:DWORD dst_unused:UNUSED_PAD src0_sel:DWORD src1_sel:WORD_1
	v_fma_f16 v98, v56, v77, -v22
	v_mul_f16_sdwa v22, v56, v77 dst_sel:DWORD dst_unused:UNUSED_PAD src0_sel:DWORD src1_sel:WORD_1
	v_fma_f16 v77, v95, v77, v22
	s_waitcnt vmcnt(0)
	v_mul_f16_sdwa v22, v91, v78 dst_sel:DWORD dst_unused:UNUSED_PAD src0_sel:DWORD src1_sel:WORD_1
	v_fma_f16 v95, v52, v78, -v22
	v_mul_f16_sdwa v22, v52, v78 dst_sel:DWORD dst_unused:UNUSED_PAD src0_sel:DWORD src1_sel:WORD_1
	v_fma_f16 v78, v91, v78, v22
	v_mul_f16_sdwa v22, v96, v79 dst_sel:DWORD dst_unused:UNUSED_PAD src0_sel:DWORD src1_sel:WORD_1
	v_fma_f16 v91, v54, v79, -v22
	v_mul_f16_sdwa v22, v54, v79 dst_sel:DWORD dst_unused:UNUSED_PAD src0_sel:DWORD src1_sel:WORD_1
	v_fma_f16 v79, v96, v79, v22
	v_mov_b32_e32 v22, 0x654
	v_cndmask_b32_e64 v22, 0, v22, s[0:1]
	v_add3_u32 v12, 0, v22, v12
	v_add_f16_e32 v22, v87, v92
	v_fma_f16 v22, v22, -0.5, v50
	v_fma_f16 v24, v23, s4, v22
	v_fma_f16 v22, v23, s5, v22
	v_add_f16_e32 v23, v83, v20
	v_add_f16_e32 v20, v20, v21
	;; [unrolled: 1-line block ×3, first 2 shown]
	v_fma_f16 v20, v20, -0.5, v83
	v_sub_f16_e32 v23, v87, v92
	v_add_f16_e32 v21, v50, v87
	v_fma_f16 v83, v23, s5, v20
	v_fma_f16 v87, v23, s4, v20
	v_add_f16_e32 v20, v70, v65
	v_fma_f16 v20, v20, -0.5, v49
	v_sub_f16_e32 v23, v18, v19
	v_fma_f16 v25, v23, s4, v20
	v_fma_f16 v20, v23, s5, v20
	v_add_f16_e32 v23, v84, v18
	v_add_f16_e32 v18, v18, v19
	;; [unrolled: 1-line block ×4, first 2 shown]
	v_fma_f16 v18, v18, -0.5, v84
	v_add_f16_e32 v19, v49, v70
	v_sub_f16_e32 v23, v70, v65
	v_add_f16_e32 v19, v19, v65
	v_fma_f16 v65, v23, s5, v18
	v_fma_f16 v70, v23, s4, v18
	v_add_f16_e32 v18, v68, v97
	v_fma_f16 v18, v18, -0.5, v48
	v_sub_f16_e32 v23, v16, v17
	v_fma_f16 v49, v23, s4, v18
	v_fma_f16 v18, v23, s5, v18
	v_add_f16_e32 v23, v85, v16
	v_add_f16_e32 v16, v16, v17
	;; [unrolled: 1-line block ×3, first 2 shown]
	v_fma_f16 v16, v16, -0.5, v85
	v_sub_f16_e32 v23, v68, v97
	v_add_f16_e32 v17, v48, v68
	v_fma_f16 v68, v23, s5, v16
	v_fma_f16 v16, v23, s4, v16
	v_add_f16_e32 v23, v63, v60
	v_fma_f16 v23, v23, -0.5, v47
	v_sub_f16_e32 v48, v14, v15
	v_fma_f16 v50, v48, s4, v23
	v_fma_f16 v23, v48, s5, v23
	v_add_f16_e32 v48, v86, v14
	v_add_f16_e32 v85, v48, v15
	;; [unrolled: 1-line block ×4, first 2 shown]
	v_fma_f16 v14, v14, -0.5, v86
	v_add_f16_e32 v15, v15, v60
	v_sub_f16_e32 v47, v63, v60
	v_add_f16_e32 v17, v17, v97
	v_fma_f16 v63, v47, s5, v14
	v_fma_f16 v14, v47, s4, v14
	v_add_f16_e32 v47, v99, v100
	ds_read_u16 v86, v28
	ds_read_u16 v97, v29
	;; [unrolled: 1-line block ×6, first 2 shown]
	s_waitcnt lgkmcnt(0)
	s_barrier
	ds_write_b16 v27, v21
	ds_write_b16 v27, v24 offset:540
	ds_write_b16 v27, v22 offset:1080
	;; [unrolled: 1-line block ×8, first 2 shown]
	ds_write_b16 v12, v15
	ds_write_b16 v12, v50 offset:540
	ds_write_b16 v12, v23 offset:1080
	v_add_f16_e32 v15, v46, v99
	v_fma_f16 v47, v47, -0.5, v46
	v_sub_f16_e32 v48, v66, v64
	v_add_f16_e32 v15, v15, v100
	v_fma_f16 v51, v48, s4, v47
	v_fma_f16 v47, v48, s5, v47
	v_add_f16_e32 v48, v82, v101
	ds_write_b16 v0, v15 offset:1728
	ds_write_b16 v0, v51 offset:2268
	;; [unrolled: 1-line block ×3, first 2 shown]
	v_add_f16_e32 v15, v45, v82
	v_fma_f16 v48, v48, -0.5, v45
	v_sub_f16_e32 v52, v67, v89
	v_add_f16_e32 v15, v15, v101
	v_fma_f16 v53, v52, s4, v48
	v_fma_f16 v48, v52, s5, v48
	v_add_f16_e32 v52, v102, v80
	ds_write_b16 v0, v15 offset:1890
	ds_write_b16 v0, v53 offset:2430
	;; [unrolled: 1-line block ×3, first 2 shown]
	v_lshlrev_b32_e32 v15, 1, v71
	v_fma_f16 v52, v52, -0.5, v44
	v_sub_f16_e32 v54, v72, v73
	v_add3_u32 v13, 0, v13, v15
	v_add_f16_e32 v15, v44, v102
	v_fma_f16 v55, v54, s4, v52
	v_fma_f16 v52, v54, s5, v52
	v_add_f16_e32 v54, v90, v81
	v_add_f16_e32 v15, v15, v80
	v_fma_f16 v54, v54, -0.5, v43
	v_sub_f16_e32 v56, v74, v75
	ds_write_b16 v13, v15
	ds_write_b16 v13, v55 offset:540
	ds_write_b16 v13, v52 offset:1080
	v_add_f16_e32 v15, v43, v90
	v_fma_f16 v57, v56, s4, v54
	v_fma_f16 v54, v56, s5, v54
	v_add_f16_e32 v56, v94, v98
	v_add_f16_e32 v15, v15, v81
	v_lshl_add_u32 v17, v88, 1, 0
	v_fma_f16 v56, v56, -0.5, v42
	v_sub_f16_e32 v58, v76, v77
	ds_write_b16 v17, v15 offset:3240
	ds_write_b16 v17, v57 offset:3780
	;; [unrolled: 1-line block ×3, first 2 shown]
	v_add_f16_e32 v15, v42, v94
	v_fma_f16 v59, v58, s4, v56
	v_fma_f16 v56, v58, s5, v56
	v_add_f16_e32 v58, v95, v91
	v_add_f16_e32 v15, v15, v98
	v_fma_f16 v58, v58, -0.5, v41
	v_sub_f16_e32 v60, v78, v79
	ds_write_b16 v69, v15 offset:3240
	ds_write_b16 v69, v59 offset:3780
	;; [unrolled: 1-line block ×3, first 2 shown]
	v_add_f16_e32 v15, v41, v95
	v_fma_f16 v61, v60, s4, v58
	v_fma_f16 v58, v60, s5, v58
	v_add_f16_e32 v15, v15, v91
	v_lshl_add_u32 v71, v93, 1, 0
	ds_write_b16 v71, v15 offset:3240
	ds_write_b16 v71, v61 offset:3780
	;; [unrolled: 1-line block ×3, first 2 shown]
	s_waitcnt lgkmcnt(0)
	s_barrier
	ds_read_u16 v18, v27
	ds_read_u16 v20, v27 offset:162
	ds_read_u16 v23, v27 offset:324
	;; [unrolled: 1-line block ×12, first 2 shown]
	ds_read_u16 v45, v28
	ds_read_u16 v48, v29
	;; [unrolled: 1-line block ×6, first 2 shown]
	ds_read_u16 v25, v27 offset:3402
	ds_read_u16 v21, v27 offset:3240
	;; [unrolled: 1-line block ×11, first 2 shown]
	s_waitcnt lgkmcnt(0)
	s_barrier
	ds_write_b16 v27, v96
	ds_write_b16 v27, v83 offset:540
	ds_write_b16 v27, v87 offset:1080
	;; [unrolled: 1-line block ×8, first 2 shown]
	ds_write_b16 v12, v85
	ds_write_b16 v12, v63 offset:540
	ds_write_b16 v12, v14 offset:1080
	v_add_f16_e32 v14, v66, v64
	v_add_f16_e32 v12, v86, v66
	v_fma_f16 v14, v14, -0.5, v86
	v_sub_f16_e32 v15, v99, v100
	v_add_f16_e32 v63, v67, v89
	v_add_f16_e32 v12, v12, v64
	v_fma_f16 v16, v15, s5, v14
	v_fma_f16 v14, v15, s4, v14
	v_add_f16_e32 v15, v97, v67
	v_fma_f16 v63, v63, -0.5, v97
	v_sub_f16_e32 v64, v82, v101
	v_add_f16_e32 v15, v15, v89
	v_fma_f16 v65, v64, s5, v63
	v_fma_f16 v63, v64, s4, v63
	ds_write_b16 v0, v12 offset:1728
	ds_write_b16 v0, v16 offset:2268
	;; [unrolled: 1-line block ×6, first 2 shown]
	v_add_f16_e32 v12, v72, v73
	v_add_f16_e32 v0, v103, v72
	v_fma_f16 v12, v12, -0.5, v103
	v_sub_f16_e32 v14, v102, v80
	v_add_f16_e32 v0, v0, v73
	v_fma_f16 v15, v14, s5, v12
	v_fma_f16 v12, v14, s4, v12
	ds_write_b16 v13, v0
	ds_write_b16 v13, v15 offset:540
	ds_write_b16 v13, v12 offset:1080
	v_add_f16_e32 v12, v74, v75
	v_add_f16_e32 v0, v104, v74
	v_fma_f16 v12, v12, -0.5, v104
	v_sub_f16_e32 v13, v90, v81
	v_add_f16_e32 v0, v0, v75
	v_fma_f16 v14, v13, s5, v12
	v_fma_f16 v12, v13, s4, v12
	ds_write_b16 v17, v0 offset:3240
	ds_write_b16 v17, v14 offset:3780
	;; [unrolled: 1-line block ×3, first 2 shown]
	v_add_f16_e32 v12, v76, v77
	v_add_f16_e32 v0, v105, v76
	v_fma_f16 v12, v12, -0.5, v105
	v_sub_f16_e32 v13, v94, v98
	v_add_f16_e32 v15, v78, v79
	v_add_f16_e32 v0, v0, v77
	v_fma_f16 v14, v13, s5, v12
	v_fma_f16 v12, v13, s4, v12
	v_add_f16_e32 v13, v106, v78
	v_fma_f16 v15, v15, -0.5, v106
	v_sub_f16_e32 v16, v95, v91
	v_add_f16_e32 v13, v13, v79
	v_fma_f16 v17, v16, s5, v15
	v_fma_f16 v15, v16, s4, v15
	ds_write_b16 v69, v0 offset:3240
	ds_write_b16 v69, v14 offset:3780
	;; [unrolled: 1-line block ×6, first 2 shown]
	s_waitcnt lgkmcnt(0)
	s_barrier
	s_and_saveexec_b64 s[0:1], vcc
	s_cbranch_execz .LBB0_15
; %bb.14:
	v_lshlrev_b32_e32 v0, 1, v40
	v_lshl_add_u64 v[12:13], v[0:1], 2, s[8:9]
	v_lshlrev_b32_e32 v0, 1, v39
	global_load_dwordx2 v[12:13], v[12:13], off offset:3200
	v_lshl_add_u64 v[14:15], v[0:1], 2, s[8:9]
	global_load_dwordx2 v[14:15], v[14:15], off offset:3200
	v_lshlrev_b32_e32 v0, 1, v38
	v_lshl_add_u64 v[16:17], v[0:1], 2, s[8:9]
	global_load_dwordx2 v[16:17], v[16:17], off offset:3200
	v_mul_lo_u32 v0, s3, v4
	v_mul_lo_u32 v38, s2, v5
	v_mad_u64_u32 v[4:5], s[0:1], s2, v4, 0
	v_add3_u32 v5, v5, v38, v0
	v_lshlrev_b32_e32 v0, 1, v36
	v_lshl_add_u64 v[38:39], v[0:1], 2, s[8:9]
	v_lshlrev_b32_e32 v0, 1, v35
	ds_read_u16 v40, v27 offset:3402
	ds_read_u16 v63, v27 offset:3240
	;; [unrolled: 1-line block ×10, first 2 shown]
	global_load_dwordx2 v[10:11], v[10:11], off offset:3200
	v_lshl_add_u64 v[64:65], v[0:1], 2, s[8:9]
	v_lshlrev_b32_e32 v0, 1, v34
	global_load_dwordx2 v[34:35], v[38:39], off offset:3200
	global_load_dwordx2 v[66:67], v[64:65], off offset:3200
	ds_read_u16 v33, v33
	ds_read_u16 v31, v31
	;; [unrolled: 1-line block ×6, first 2 shown]
	v_lshl_add_u64 v[38:39], v[0:1], 2, s[8:9]
	global_load_dwordx2 v[38:39], v[38:39], off offset:3200
	s_mov_b32 s0, 0x50e89cc3
	v_lshl_add_u64 v[4:5], v[4:5], 2, s[6:7]
	v_lshl_add_u64 v[2:3], v[2:3], 2, v[4:5]
	s_movk_i32 s1, 0x1000
	global_load_dwordx2 v[8:9], v[8:9], off offset:3200
	s_waitcnt vmcnt(7)
	v_lshrrev_b32_e32 v0, 16, v12
	global_load_dwordx2 v[6:7], v[6:7], off offset:3200
	v_lshrrev_b32_e32 v36, 16, v13
	s_waitcnt lgkmcnt(13)
	v_mul_f16_e32 v64, v12, v68
	s_waitcnt lgkmcnt(9)
	v_mul_f16_e32 v65, v13, v72
	v_mul_f16_e32 v68, v0, v68
	v_mul_f16_e32 v72, v36, v72
	v_fma_f16 v0, v61, v0, v64
	v_fma_f16 v36, v62, v36, v65
	s_waitcnt vmcnt(7)
	v_lshrrev_b32_e32 v64, 16, v14
	v_lshrrev_b32_e32 v65, 16, v15
	v_mul_f16_e32 v76, v14, v69
	s_waitcnt lgkmcnt(8)
	v_mul_f16_e32 v77, v15, v73
	v_fma_f16 v12, v61, v12, -v68
	v_fma_f16 v13, v62, v13, -v72
	v_add_f16_e32 v61, v0, v36
	v_mul_f16_e32 v68, v64, v69
	v_mul_f16_e32 v69, v65, v73
	v_fma_f16 v64, v59, v64, v76
	v_fma_f16 v65, v60, v65, v77
	s_waitcnt lgkmcnt(5)
	v_add_f16_e32 v62, v0, v33
	s_waitcnt vmcnt(6)
	v_lshrrev_b32_e32 v72, 16, v16
	v_sub_f16_e32 v76, v12, v13
	v_fma_f16 v33, v61, -0.5, v33
	v_add_f16_e32 v61, v12, v13
	v_add_f16_e32 v12, v58, v12
	v_fma_f16 v14, v59, v14, -v68
	v_fma_f16 v15, v60, v15, -v69
	v_add_f16_e32 v59, v64, v65
	v_sub_f16_e32 v0, v0, v36
	v_add_f16_e32 v36, v36, v62
	s_waitcnt lgkmcnt(2)
	v_add_f16_e32 v60, v64, v32
	v_sub_f16_e32 v62, v64, v65
	v_mul_f16_e32 v64, v72, v70
	v_fma_f16 v58, v61, -0.5, v58
	v_add_f16_e32 v61, v12, v13
	v_sub_f16_e32 v12, v14, v15
	v_fma_f16 v13, v59, -0.5, v32
	v_add_f16_e32 v59, v14, v15
	v_lshrrev_b32_e32 v73, 16, v17
	v_add_f16_e32 v32, v65, v60
	v_add_f16_e32 v14, v56, v14
	v_fma_f16 v60, v55, v16, -v64
	v_fma_f16 v64, v0, s5, v58
	v_fma_f16 v58, v0, s4, v58
	;; [unrolled: 1-line block ×4, first 2 shown]
	v_fma_f16 v0, v59, -0.5, v56
	v_mul_f16_e32 v13, v16, v70
	v_mul_f16_e32 v16, v17, v74
	v_add_f16_e32 v14, v14, v15
	v_fma_f16 v15, v62, s5, v0
	v_fma_f16 v56, v62, s4, v0
	v_mul_f16_e32 v0, v73, v74
	v_fma_f16 v13, v55, v72, v13
	v_fma_f16 v16, v57, v73, v16
	v_fma_f16 v0, v57, v17, -v0
	v_add_f16_e32 v17, v13, v16
	v_sub_f16_e32 v12, v60, v0
	v_fma_f16 v17, v17, -0.5, v31
	ds_read_u16 v62, v27 offset:4050
	v_fma_f16 v55, v12, s4, v17
	v_fma_f16 v17, v12, s5, v17
	v_add_f16_e32 v12, v13, v31
	v_add_f16_e32 v31, v16, v12
	;; [unrolled: 1-line block ×3, first 2 shown]
	v_fma_f16 v12, v12, -0.5, v54
	v_sub_f16_e32 v13, v13, v16
	v_fma_f16 v16, v13, s5, v12
	v_fma_f16 v57, v13, s4, v12
	v_add_f16_e32 v12, v54, v60
	v_add_f16_e32 v54, v12, v0
	v_lshlrev_b32_e32 v0, 1, v37
	v_lshl_add_u64 v[12:13], v[0:1], 2, s[8:9]
	global_load_dwordx2 v[12:13], v[12:13], off offset:3200
	s_waitcnt vmcnt(5)
	v_lshrrev_b32_e32 v59, 16, v34
	v_lshrrev_b32_e32 v60, 16, v35
	ds_read_u16 v0, v27 offset:2430
	v_mul_f16_e32 v37, v59, v71
	v_mul_f16_e32 v70, v60, v75
	v_fma_f16 v37, v52, v34, -v37
	v_fma_f16 v70, v53, v35, -v70
	v_mul_f16_e32 v34, v34, v71
	ds_read_u16 v71, v27 offset:3888
	v_mul_f16_e32 v35, v35, v75
	v_fma_f16 v34, v52, v59, v34
	v_fma_f16 v35, v53, v60, v35
	v_add_f16_e32 v52, v34, v35
	v_add_f16_e32 v59, v37, v70
	v_sub_f16_e32 v72, v37, v70
	s_waitcnt lgkmcnt(4)
	v_fma_f16 v52, v52, -0.5, v30
	v_add_f16_e32 v30, v34, v30
	v_fma_f16 v59, v59, -0.5, v51
	v_sub_f16_e32 v34, v34, v35
	v_add_f16_e32 v37, v51, v37
	s_waitcnt vmcnt(4)
	v_lshrrev_b32_e32 v51, 16, v66
	v_add_f16_e32 v30, v35, v30
	v_fma_f16 v35, v34, s5, v59
	v_fma_f16 v34, v34, s4, v59
	v_add_f16_e32 v37, v37, v70
	v_lshrrev_b32_e32 v59, 16, v67
	ds_read_u16 v60, v27 offset:2268
	s_waitcnt lgkmcnt(2)
	v_mul_f16_e32 v70, v51, v0
	v_mul_f16_e32 v0, v66, v0
	v_fma_f16 v53, v72, s4, v52
	v_fma_f16 v52, v72, s5, v52
	v_fma_f16 v70, v49, v66, -v70
	v_mul_f16_e32 v72, v59, v62
	v_fma_f16 v0, v49, v51, v0
	v_mul_f16_e32 v49, v67, v62
	v_fma_f16 v72, v50, v67, -v72
	v_fma_f16 v49, v50, v59, v49
	v_add_f16_e32 v50, v0, v49
	v_add_f16_e32 v59, v70, v72
	v_fma_f16 v50, v50, -0.5, v29
	v_add_f16_e32 v29, v0, v29
	v_fma_f16 v59, v59, -0.5, v48
	v_sub_f16_e32 v0, v0, v49
	v_add_f16_e32 v29, v49, v29
	v_fma_f16 v49, v0, s5, v59
	v_fma_f16 v59, v0, s4, v59
	v_add_f16_e32 v0, v48, v70
	v_add_f16_e32 v48, v0, v72
	s_waitcnt vmcnt(3)
	v_lshrrev_b32_e32 v0, 16, v38
	s_waitcnt lgkmcnt(0)
	v_mul_f16_e32 v66, v0, v60
	v_lshrrev_b32_e32 v62, 16, v39
	v_fma_f16 v66, v46, v38, -v66
	v_mul_f16_e32 v38, v38, v60
	v_sub_f16_e32 v73, v70, v72
	v_mul_f16_e32 v70, v62, v71
	v_fma_f16 v0, v46, v0, v38
	v_mul_f16_e32 v38, v39, v71
	v_fma_f16 v70, v47, v39, -v70
	v_fma_f16 v38, v47, v62, v38
	v_add_f16_e32 v39, v0, v38
	v_add_f16_e32 v47, v66, v70
	ds_read_u16 v67, v27 offset:3726
	ds_read_u16 v71, v27 offset:3564
	v_fma_f16 v39, v39, -0.5, v28
	v_add_f16_e32 v28, v0, v28
	v_fma_f16 v47, v47, -0.5, v45
	v_sub_f16_e32 v0, v0, v38
	v_add_f16_e32 v28, v38, v28
	v_fma_f16 v38, v0, s5, v47
	v_fma_f16 v47, v0, s4, v47
	v_add_f16_e32 v0, v45, v66
	v_add_f16_e32 v45, v0, v70
	ds_read_u16 v0, v27 offset:2106
	v_sub_f16_e32 v72, v66, v70
	ds_read_u16 v66, v27 offset:1944
	ds_read_u16 v74, v27 offset:486
	v_fma_f16 v46, v72, s4, v39
	v_fma_f16 v39, v72, s5, v39
	;; [unrolled: 1-line block ×3, first 2 shown]
	s_waitcnt vmcnt(0)
	v_lshrrev_b32_e32 v60, 16, v12
	s_waitcnt lgkmcnt(2)
	v_mul_f16_e32 v70, v60, v0
	v_lshrrev_b32_e32 v62, 16, v13
	v_fma_f16 v70, v43, v12, -v70
	v_mul_f16_e32 v0, v12, v0
	v_mul_f16_e32 v12, v13, v67
	;; [unrolled: 1-line block ×3, first 2 shown]
	v_fma_f16 v0, v43, v60, v0
	v_fma_f16 v12, v44, v62, v12
	v_fma_f16 v72, v44, v13, -v72
	v_add_f16_e32 v13, v0, v12
	v_fma_f16 v50, v73, s5, v50
	v_sub_f16_e32 v73, v70, v72
	s_waitcnt lgkmcnt(0)
	v_fma_f16 v13, v13, -0.5, v74
	v_fma_f16 v62, v73, s4, v13
	v_fma_f16 v13, v73, s5, v13
	v_add_f16_e32 v73, v70, v72
	v_add_f16_e32 v67, v0, v74
	v_fma_f16 v73, v73, -0.5, v41
	v_sub_f16_e32 v0, v0, v12
	v_add_f16_e32 v67, v12, v67
	v_fma_f16 v12, v0, s5, v73
	v_fma_f16 v73, v0, s4, v73
	v_add_f16_e32 v0, v41, v70
	v_add_f16_e32 v41, v0, v72
	v_lshrrev_b32_e32 v0, 16, v10
	ds_read_u16 v43, v27 offset:1782
	ds_read_u16 v44, v27 offset:1620
	;; [unrolled: 1-line block ×3, first 2 shown]
	v_mul_f16_e32 v72, v0, v66
	v_lshrrev_b32_e32 v70, 16, v11
	v_fma_f16 v72, v24, v10, -v72
	v_mul_f16_e32 v10, v10, v66
	v_mul_f16_e32 v74, v70, v71
	v_fma_f16 v0, v24, v0, v10
	v_mul_f16_e32 v10, v11, v71
	v_fma_f16 v74, v42, v11, -v74
	v_fma_f16 v10, v42, v70, v10
	v_add_f16_e32 v11, v0, v10
	v_add_f16_e32 v66, v72, v74
	s_waitcnt lgkmcnt(0)
	v_fma_f16 v11, v11, -0.5, v60
	v_add_f16_e32 v60, v0, v60
	v_fma_f16 v66, v66, -0.5, v23
	v_sub_f16_e32 v0, v0, v10
	v_add_f16_e32 v60, v10, v60
	v_fma_f16 v10, v0, s5, v66
	v_fma_f16 v66, v0, s4, v66
	v_add_f16_e32 v0, v23, v72
	v_add_f16_e32 v23, v0, v74
	v_lshrrev_b32_e32 v0, 16, v8
	ds_read_u16 v24, v27 offset:162
	v_mul_f16_e32 v71, v0, v43
	v_lshrrev_b32_e32 v70, 16, v9
	v_fma_f16 v71, v22, v8, -v71
	v_mul_f16_e32 v8, v8, v43
	v_sub_f16_e32 v75, v72, v74
	v_mul_f16_e32 v72, v70, v40
	v_fma_f16 v0, v22, v0, v8
	ds_read_u16 v22, v27
	v_mul_f16_e32 v8, v9, v40
	v_fma_f16 v72, v25, v9, -v72
	v_fma_f16 v8, v25, v70, v8
	v_add_f16_e32 v9, v0, v8
	v_add_f16_e32 v27, v71, v72
	s_waitcnt lgkmcnt(1)
	v_fma_f16 v9, v9, -0.5, v24
	v_add_f16_e32 v24, v0, v24
	v_fma_f16 v27, v27, -0.5, v20
	v_sub_f16_e32 v0, v0, v8
	v_add_f16_e32 v24, v8, v24
	v_fma_f16 v8, v0, s5, v27
	v_fma_f16 v27, v0, s4, v27
	v_add_f16_e32 v0, v20, v71
	v_add_f16_e32 v20, v0, v72
	v_lshrrev_b32_e32 v0, 16, v6
	v_mul_f16_e32 v43, v0, v44
	v_fma_f16 v43, v19, v6, -v43
	v_mul_f16_e32 v6, v6, v44
	v_lshrrev_b32_e32 v40, 16, v7
	v_fma_f16 v0, v19, v0, v6
	v_mul_f16_e32 v6, v7, v63
	v_mul_f16_e32 v70, v40, v63
	v_fma_f16 v6, v21, v40, v6
	v_fma_f16 v70, v21, v7, -v70
	v_add_f16_e32 v7, v0, v6
	s_waitcnt lgkmcnt(0)
	v_fma_f16 v7, v7, -0.5, v22
	v_add_f16_e32 v21, v0, v22
	v_add_f16_e32 v22, v43, v70
	v_fma_f16 v22, v22, -0.5, v18
	v_sub_f16_e32 v0, v0, v6
	v_add_f16_e32 v21, v6, v21
	v_fma_f16 v6, v0, s5, v22
	v_fma_f16 v22, v0, s4, v22
	v_add_f16_e32 v0, v18, v43
	v_add_f16_e32 v18, v0, v70
	v_mul_hi_u32 v0, v26, s0
	v_lshrrev_b32_e32 v0, 8, v0
	v_mul_u32_u24_e32 v0, 0x32a, v0
	v_sub_u32_e32 v0, v26, v0
	v_sub_f16_e32 v74, v71, v72
	v_sub_f16_e32 v71, v43, v70
	v_lshlrev_b32_e32 v0, 2, v0
	v_fma_f16 v19, v71, s4, v7
	v_fma_f16 v7, v71, s5, v7
	v_lshl_add_u64 v[4:5], v[2:3], 0, v[0:1]
	v_pack_b32_f16 v0, v18, v21
	global_store_dword v[4:5], v0, off
	v_pack_b32_f16 v0, v22, v7
	global_store_dword v[4:5], v0, off offset:3240
	v_add_co_u32_e32 v4, vcc, s1, v4
	v_pack_b32_f16 v0, v6, v19
	s_nop 0
	v_addc_co_u32_e32 v5, vcc, 0, v5, vcc
	global_store_dword v[4:5], v0, off offset:2384
	v_add_u32_e32 v0, 0x51, v26
	v_mul_hi_u32 v4, v0, s0
	v_lshrrev_b32_e32 v4, 8, v4
	v_mul_u32_u24_e32 v5, 0x32a, v4
	v_sub_u32_e32 v0, v0, v5
	s_movk_i32 s1, 0x97e
	v_mad_u32_u24 v0, v4, s1, v0
	v_lshl_add_u64 v[4:5], v[0:1], 2, v[2:3]
	v_pack_b32_f16 v6, v20, v24
	v_fma_f16 v25, v74, s4, v9
	v_fma_f16 v9, v74, s5, v9
	global_store_dword v[4:5], v6, off
	v_add_u32_e32 v4, 0x32a, v0
	v_mov_b32_e32 v5, v1
	v_lshl_add_u64 v[4:5], v[4:5], 2, v[2:3]
	v_pack_b32_f16 v6, v27, v9
	v_add_u32_e32 v0, 0x654, v0
	global_store_dword v[4:5], v6, off
	v_lshl_add_u64 v[4:5], v[0:1], 2, v[2:3]
	v_pack_b32_f16 v0, v8, v25
	global_store_dword v[4:5], v0, off
	v_add_u32_e32 v0, 0xa2, v26
	v_mul_hi_u32 v4, v0, s0
	v_lshrrev_b32_e32 v4, 8, v4
	v_mul_u32_u24_e32 v5, 0x32a, v4
	v_sub_u32_e32 v0, v0, v5
	v_mad_u32_u24 v0, v4, s1, v0
	v_lshl_add_u64 v[4:5], v[0:1], 2, v[2:3]
	v_pack_b32_f16 v6, v23, v60
	v_fma_f16 v42, v75, s4, v11
	v_fma_f16 v11, v75, s5, v11
	global_store_dword v[4:5], v6, off
	v_add_u32_e32 v4, 0x32a, v0
	v_mov_b32_e32 v5, v1
	v_lshl_add_u64 v[4:5], v[4:5], 2, v[2:3]
	v_pack_b32_f16 v6, v66, v11
	v_add_u32_e32 v0, 0x654, v0
	global_store_dword v[4:5], v6, off
	v_lshl_add_u64 v[4:5], v[0:1], 2, v[2:3]
	v_pack_b32_f16 v0, v10, v42
	global_store_dword v[4:5], v0, off
	v_add_u32_e32 v0, 0xf3, v26
	v_mul_hi_u32 v4, v0, s0
	v_lshrrev_b32_e32 v4, 8, v4
	v_mul_u32_u24_e32 v5, 0x32a, v4
	v_sub_u32_e32 v0, v0, v5
	v_mad_u32_u24 v0, v4, s1, v0
	v_lshl_add_u64 v[4:5], v[0:1], 2, v[2:3]
	v_pack_b32_f16 v6, v41, v67
	global_store_dword v[4:5], v6, off
	v_add_u32_e32 v4, 0x32a, v0
	v_mov_b32_e32 v5, v1
	v_lshl_add_u64 v[4:5], v[4:5], 2, v[2:3]
	v_pack_b32_f16 v6, v73, v13
	v_add_u32_e32 v0, 0x654, v0
	global_store_dword v[4:5], v6, off
	v_lshl_add_u64 v[4:5], v[0:1], 2, v[2:3]
	v_pack_b32_f16 v0, v12, v62
	global_store_dword v[4:5], v0, off
	v_add_u32_e32 v0, 0x144, v26
	v_mul_hi_u32 v4, v0, s0
	v_lshrrev_b32_e32 v4, 8, v4
	v_mul_u32_u24_e32 v5, 0x32a, v4
	v_sub_u32_e32 v0, v0, v5
	v_mad_u32_u24 v0, v4, s1, v0
	v_lshl_add_u64 v[4:5], v[0:1], 2, v[2:3]
	v_pack_b32_f16 v6, v45, v28
	;; [unrolled: 18-line block ×7, first 2 shown]
	v_fma_f16 v68, v76, s4, v33
	v_fma_f16 v33, v76, s5, v33
	global_store_dword v[4:5], v6, off
	v_add_u32_e32 v4, 0x32a, v0
	v_mov_b32_e32 v5, v1
	v_add_u32_e32 v0, 0x654, v0
	v_lshl_add_u64 v[4:5], v[4:5], 2, v[2:3]
	v_pack_b32_f16 v6, v58, v33
	v_lshl_add_u64 v[0:1], v[0:1], 2, v[2:3]
	v_pack_b32_f16 v2, v64, v68
	global_store_dword v[4:5], v6, off
	global_store_dword v[0:1], v2, off
.LBB0_15:
	s_endpgm
	.section	.rodata,"a",@progbits
	.p2align	6, 0x0
	.amdhsa_kernel fft_rtc_fwd_len2430_factors_10_3_3_3_3_3_wgs_81_tpt_81_halfLds_half_op_CI_CI_unitstride_sbrr_dirReg
		.amdhsa_group_segment_fixed_size 0
		.amdhsa_private_segment_fixed_size 0
		.amdhsa_kernarg_size 104
		.amdhsa_user_sgpr_count 2
		.amdhsa_user_sgpr_dispatch_ptr 0
		.amdhsa_user_sgpr_queue_ptr 0
		.amdhsa_user_sgpr_kernarg_segment_ptr 1
		.amdhsa_user_sgpr_dispatch_id 0
		.amdhsa_user_sgpr_kernarg_preload_length 0
		.amdhsa_user_sgpr_kernarg_preload_offset 0
		.amdhsa_user_sgpr_private_segment_size 0
		.amdhsa_uses_dynamic_stack 0
		.amdhsa_enable_private_segment 0
		.amdhsa_system_sgpr_workgroup_id_x 1
		.amdhsa_system_sgpr_workgroup_id_y 0
		.amdhsa_system_sgpr_workgroup_id_z 0
		.amdhsa_system_sgpr_workgroup_info 0
		.amdhsa_system_vgpr_workitem_id 0
		.amdhsa_next_free_vgpr 122
		.amdhsa_next_free_sgpr 28
		.amdhsa_accum_offset 124
		.amdhsa_reserve_vcc 1
		.amdhsa_float_round_mode_32 0
		.amdhsa_float_round_mode_16_64 0
		.amdhsa_float_denorm_mode_32 3
		.amdhsa_float_denorm_mode_16_64 3
		.amdhsa_dx10_clamp 1
		.amdhsa_ieee_mode 1
		.amdhsa_fp16_overflow 0
		.amdhsa_tg_split 0
		.amdhsa_exception_fp_ieee_invalid_op 0
		.amdhsa_exception_fp_denorm_src 0
		.amdhsa_exception_fp_ieee_div_zero 0
		.amdhsa_exception_fp_ieee_overflow 0
		.amdhsa_exception_fp_ieee_underflow 0
		.amdhsa_exception_fp_ieee_inexact 0
		.amdhsa_exception_int_div_zero 0
	.end_amdhsa_kernel
	.text
.Lfunc_end0:
	.size	fft_rtc_fwd_len2430_factors_10_3_3_3_3_3_wgs_81_tpt_81_halfLds_half_op_CI_CI_unitstride_sbrr_dirReg, .Lfunc_end0-fft_rtc_fwd_len2430_factors_10_3_3_3_3_3_wgs_81_tpt_81_halfLds_half_op_CI_CI_unitstride_sbrr_dirReg
                                        ; -- End function
	.section	.AMDGPU.csdata,"",@progbits
; Kernel info:
; codeLenInByte = 20764
; NumSgprs: 34
; NumVgprs: 122
; NumAgprs: 0
; TotalNumVgprs: 122
; ScratchSize: 0
; MemoryBound: 0
; FloatMode: 240
; IeeeMode: 1
; LDSByteSize: 0 bytes/workgroup (compile time only)
; SGPRBlocks: 4
; VGPRBlocks: 15
; NumSGPRsForWavesPerEU: 34
; NumVGPRsForWavesPerEU: 122
; AccumOffset: 124
; Occupancy: 4
; WaveLimiterHint : 1
; COMPUTE_PGM_RSRC2:SCRATCH_EN: 0
; COMPUTE_PGM_RSRC2:USER_SGPR: 2
; COMPUTE_PGM_RSRC2:TRAP_HANDLER: 0
; COMPUTE_PGM_RSRC2:TGID_X_EN: 1
; COMPUTE_PGM_RSRC2:TGID_Y_EN: 0
; COMPUTE_PGM_RSRC2:TGID_Z_EN: 0
; COMPUTE_PGM_RSRC2:TIDIG_COMP_CNT: 0
; COMPUTE_PGM_RSRC3_GFX90A:ACCUM_OFFSET: 30
; COMPUTE_PGM_RSRC3_GFX90A:TG_SPLIT: 0
	.text
	.p2alignl 6, 3212836864
	.fill 256, 4, 3212836864
	.type	__hip_cuid_c4d96de01716bc01,@object ; @__hip_cuid_c4d96de01716bc01
	.section	.bss,"aw",@nobits
	.globl	__hip_cuid_c4d96de01716bc01
__hip_cuid_c4d96de01716bc01:
	.byte	0                               ; 0x0
	.size	__hip_cuid_c4d96de01716bc01, 1

	.ident	"AMD clang version 19.0.0git (https://github.com/RadeonOpenCompute/llvm-project roc-6.4.0 25133 c7fe45cf4b819c5991fe208aaa96edf142730f1d)"
	.section	".note.GNU-stack","",@progbits
	.addrsig
	.addrsig_sym __hip_cuid_c4d96de01716bc01
	.amdgpu_metadata
---
amdhsa.kernels:
  - .agpr_count:     0
    .args:
      - .actual_access:  read_only
        .address_space:  global
        .offset:         0
        .size:           8
        .value_kind:     global_buffer
      - .offset:         8
        .size:           8
        .value_kind:     by_value
      - .actual_access:  read_only
        .address_space:  global
        .offset:         16
        .size:           8
        .value_kind:     global_buffer
      - .actual_access:  read_only
        .address_space:  global
        .offset:         24
        .size:           8
        .value_kind:     global_buffer
      - .actual_access:  read_only
        .address_space:  global
        .offset:         32
        .size:           8
        .value_kind:     global_buffer
      - .offset:         40
        .size:           8
        .value_kind:     by_value
      - .actual_access:  read_only
        .address_space:  global
        .offset:         48
        .size:           8
        .value_kind:     global_buffer
      - .actual_access:  read_only
        .address_space:  global
        .offset:         56
        .size:           8
        .value_kind:     global_buffer
      - .offset:         64
        .size:           4
        .value_kind:     by_value
      - .actual_access:  read_only
        .address_space:  global
        .offset:         72
        .size:           8
        .value_kind:     global_buffer
      - .actual_access:  read_only
        .address_space:  global
        .offset:         80
        .size:           8
        .value_kind:     global_buffer
      - .actual_access:  read_only
        .address_space:  global
        .offset:         88
        .size:           8
        .value_kind:     global_buffer
      - .actual_access:  write_only
        .address_space:  global
        .offset:         96
        .size:           8
        .value_kind:     global_buffer
    .group_segment_fixed_size: 0
    .kernarg_segment_align: 8
    .kernarg_segment_size: 104
    .language:       OpenCL C
    .language_version:
      - 2
      - 0
    .max_flat_workgroup_size: 81
    .name:           fft_rtc_fwd_len2430_factors_10_3_3_3_3_3_wgs_81_tpt_81_halfLds_half_op_CI_CI_unitstride_sbrr_dirReg
    .private_segment_fixed_size: 0
    .sgpr_count:     34
    .sgpr_spill_count: 0
    .symbol:         fft_rtc_fwd_len2430_factors_10_3_3_3_3_3_wgs_81_tpt_81_halfLds_half_op_CI_CI_unitstride_sbrr_dirReg.kd
    .uniform_work_group_size: 1
    .uses_dynamic_stack: false
    .vgpr_count:     122
    .vgpr_spill_count: 0
    .wavefront_size: 64
amdhsa.target:   amdgcn-amd-amdhsa--gfx950
amdhsa.version:
  - 1
  - 2
...

	.end_amdgpu_metadata
